;; amdgpu-corpus repo=ggml-org/llama.cpp kind=compiled arch=gfx906 opt=O3
	.amdgcn_target "amdgcn-amd-amdhsa--gfx906"
	.amdhsa_code_object_version 6
	.section	.text._ZL13conv2d_kernelI6__half11whcn_layoutEvPKfPKT_Pf11conv_params,"axG",@progbits,_ZL13conv2d_kernelI6__half11whcn_layoutEvPKfPKT_Pf11conv_params,comdat
	.globl	_ZL13conv2d_kernelI6__half11whcn_layoutEvPKfPKT_Pf11conv_params ; -- Begin function _ZL13conv2d_kernelI6__half11whcn_layoutEvPKfPKT_Pf11conv_params
	.p2align	8
	.type	_ZL13conv2d_kernelI6__half11whcn_layoutEvPKfPKT_Pf11conv_params,@function
_ZL13conv2d_kernelI6__half11whcn_layoutEvPKfPKT_Pf11conv_params: ; @_ZL13conv2d_kernelI6__half11whcn_layoutEvPKfPKT_Pf11conv_params
; %bb.0:
	s_load_dword s2, s[4:5], 0xa4
	s_load_dwordx2 s[0:1], s[4:5], 0x90
	s_add_u32 s34, s4, 24
	s_addc_u32 s35, s5, 0
	v_mov_b32_e32 v7, 0
	s_waitcnt lgkmcnt(0)
	s_and_b32 s2, s2, 0xffff
	s_mul_i32 s6, s6, s2
	v_add_u32_e32 v6, s6, v0
	v_cmp_gt_i64_e32 vcc, s[0:1], v[6:7]
	s_and_saveexec_b64 s[0:1], vcc
	s_cbranch_execz .LBB0_50
; %bb.1:
	s_load_dwordx16 s[8:23], s[34:35], 0x0
	s_mov_b32 s0, 0
	s_waitcnt lgkmcnt(0)
	s_mov_b32 s1, s13
	s_cmp_lg_u64 s[0:1], 0
	s_cbranch_scc0 .LBB0_45
; %bb.2:
	s_ashr_i32 s2, s13, 31
	s_add_u32 s0, s12, s2
	s_mov_b32 s3, s2
	s_addc_u32 s1, s13, s2
	s_xor_b64 s[6:7], s[0:1], s[2:3]
	v_cvt_f32_u32_e32 v0, s6
	v_cvt_f32_u32_e32 v1, s7
	s_sub_u32 s3, 0, s6
	s_subb_u32 s24, 0, s7
	v_add_co_u32_e32 v4, vcc, 0, v6
	v_madmk_f32 v0, v1, 0x4f800000, v0
	v_rcp_f32_e32 v0, v0
	v_mul_f32_e32 v0, 0x5f7ffffc, v0
	v_mul_f32_e32 v1, 0x2f800000, v0
	v_trunc_f32_e32 v1, v1
	v_madmk_f32 v0, v1, 0xcf800000, v0
	v_cvt_u32_f32_e32 v1, v1
	v_cvt_u32_f32_e32 v0, v0
	v_readfirstlane_b32 s25, v1
	v_readfirstlane_b32 s0, v0
	s_mul_i32 s1, s3, s25
	s_mul_hi_u32 s27, s3, s0
	s_mul_i32 s26, s24, s0
	s_add_i32 s1, s27, s1
	s_add_i32 s1, s1, s26
	s_mul_i32 s28, s3, s0
	s_mul_i32 s27, s0, s1
	s_mul_hi_u32 s29, s0, s28
	s_mul_hi_u32 s26, s0, s1
	s_add_u32 s27, s29, s27
	s_addc_u32 s26, 0, s26
	s_mul_hi_u32 s30, s25, s28
	s_mul_i32 s28, s25, s28
	s_add_u32 s27, s27, s28
	s_mul_hi_u32 s29, s25, s1
	s_addc_u32 s26, s26, s30
	s_addc_u32 s27, s29, 0
	s_mul_i32 s1, s25, s1
	s_add_u32 s1, s26, s1
	s_addc_u32 s26, 0, s27
	s_add_u32 s27, s0, s1
	s_cselect_b64 s[0:1], -1, 0
	s_cmp_lg_u64 s[0:1], 0
	s_addc_u32 s25, s25, s26
	s_mul_i32 s0, s3, s25
	s_mul_hi_u32 s1, s3, s27
	s_add_i32 s0, s1, s0
	s_mul_i32 s24, s24, s27
	s_add_i32 s0, s0, s24
	s_mul_i32 s3, s3, s27
	s_mul_hi_u32 s24, s25, s3
	s_mul_i32 s26, s25, s3
	s_mul_i32 s29, s27, s0
	s_mul_hi_u32 s3, s27, s3
	s_mul_hi_u32 s28, s27, s0
	s_add_u32 s3, s3, s29
	s_addc_u32 s28, 0, s28
	s_add_u32 s3, s3, s26
	s_mul_hi_u32 s1, s25, s0
	s_addc_u32 s3, s28, s24
	s_addc_u32 s1, s1, 0
	s_mul_i32 s0, s25, s0
	s_add_u32 s0, s3, s0
	s_addc_u32 s3, 0, s1
	s_add_u32 s24, s27, s0
	s_cselect_b64 s[0:1], -1, 0
	s_cmp_lg_u64 s[0:1], 0
	s_addc_u32 s3, s25, s3
	v_mad_u64_u32 v[0:1], s[0:1], v4, s3, 0
	v_mul_hi_u32 v2, v4, s24
	v_addc_co_u32_e64 v5, s[0:1], 0, 0, vcc
	v_add_co_u32_e32 v7, vcc, v2, v0
	v_addc_co_u32_e32 v8, vcc, 0, v1, vcc
	v_mad_u64_u32 v[0:1], s[0:1], v5, s24, 0
	v_mad_u64_u32 v[2:3], s[0:1], v5, s3, 0
	v_add_co_u32_e32 v0, vcc, v7, v0
	v_addc_co_u32_e32 v0, vcc, v8, v1, vcc
	v_addc_co_u32_e32 v1, vcc, 0, v3, vcc
	v_add_co_u32_e32 v2, vcc, v0, v2
	v_addc_co_u32_e32 v3, vcc, 0, v1, vcc
	v_mul_lo_u32 v7, s7, v2
	v_mul_lo_u32 v8, s6, v3
	v_mad_u64_u32 v[0:1], s[0:1], s6, v2, 0
	v_add3_u32 v1, v1, v8, v7
	v_sub_u32_e32 v7, v5, v1
	v_mov_b32_e32 v8, s7
	v_sub_co_u32_e32 v0, vcc, v4, v0
	v_subb_co_u32_e64 v4, s[0:1], v7, v8, vcc
	v_subrev_co_u32_e64 v7, s[0:1], s6, v0
	v_subbrev_co_u32_e64 v4, s[0:1], 0, v4, s[0:1]
	v_cmp_le_u32_e64 s[0:1], s7, v4
	v_cndmask_b32_e64 v8, 0, -1, s[0:1]
	v_cmp_le_u32_e64 s[0:1], s6, v7
	v_cndmask_b32_e64 v7, 0, -1, s[0:1]
	v_cmp_eq_u32_e64 s[0:1], s7, v4
	v_cndmask_b32_e64 v4, v8, v7, s[0:1]
	v_add_co_u32_e64 v7, s[0:1], 2, v2
	v_subb_co_u32_e32 v1, vcc, v5, v1, vcc
	v_addc_co_u32_e64 v8, s[0:1], 0, v3, s[0:1]
	v_cmp_le_u32_e32 vcc, s7, v1
	v_add_co_u32_e64 v9, s[0:1], 1, v2
	v_cndmask_b32_e64 v5, 0, -1, vcc
	v_cmp_le_u32_e32 vcc, s6, v0
	v_addc_co_u32_e64 v10, s[0:1], 0, v3, s[0:1]
	v_cndmask_b32_e64 v0, 0, -1, vcc
	v_cmp_eq_u32_e32 vcc, s7, v1
	v_cmp_ne_u32_e64 s[0:1], 0, v4
	v_cndmask_b32_e32 v0, v5, v0, vcc
	v_cmp_ne_u32_e32 vcc, 0, v0
	v_cndmask_b32_e64 v1, v9, v7, s[0:1]
	v_cndmask_b32_e64 v4, v10, v8, s[0:1]
	v_cndmask_b32_e32 v1, v2, v1, vcc
	v_cndmask_b32_e32 v0, v3, v4, vcc
	v_xor_b32_e32 v1, s2, v1
	v_xor_b32_e32 v0, s2, v0
	v_mov_b32_e32 v2, s2
	v_subrev_co_u32_e32 v7, vcc, s2, v1
	v_subb_co_u32_e32 v8, vcc, v0, v2, vcc
	s_cbranch_execnz .LBB0_4
.LBB0_3:
	v_cvt_f32_u32_e32 v0, s12
	s_sub_i32 s0, 0, s12
	v_mov_b32_e32 v8, 0
	v_rcp_iflag_f32_e32 v0, v0
	v_mul_f32_e32 v0, 0x4f7ffffe, v0
	v_cvt_u32_f32_e32 v0, v0
	v_mul_lo_u32 v1, s0, v0
	v_mul_hi_u32 v1, v0, v1
	v_add_u32_e32 v0, v0, v1
	v_mul_hi_u32 v0, v6, v0
	v_mul_lo_u32 v1, v0, s12
	v_add_u32_e32 v2, 1, v0
	v_sub_u32_e32 v1, v6, v1
	v_subrev_u32_e32 v3, s12, v1
	v_cmp_le_u32_e32 vcc, s12, v1
	v_cndmask_b32_e32 v1, v1, v3, vcc
	v_cndmask_b32_e32 v0, v0, v2, vcc
	v_add_u32_e32 v2, 1, v0
	v_cmp_le_u32_e32 vcc, s12, v1
	v_cndmask_b32_e32 v7, v0, v2, vcc
.LBB0_4:
	v_or_b32_e32 v1, s15, v8
	v_mov_b32_e32 v0, 0
	v_cmp_ne_u64_e32 vcc, 0, v[0:1]
                                        ; implicit-def: $vgpr0_vgpr1
	s_and_saveexec_b64 s[0:1], vcc
	s_xor_b64 s[6:7], exec, s[0:1]
	s_cbranch_execz .LBB0_6
; %bb.5:
	s_ashr_i32 s0, s15, 31
	s_add_u32 s2, s14, s0
	s_mov_b32 s1, s0
	s_addc_u32 s3, s15, s0
	s_xor_b64 s[24:25], s[2:3], s[0:1]
	v_cvt_f32_u32_e32 v0, s24
	v_cvt_f32_u32_e32 v1, s25
	s_sub_u32 s2, 0, s24
	s_subb_u32 s3, 0, s25
	v_ashrrev_i32_e32 v4, 31, v8
	v_madmk_f32 v0, v1, 0x4f800000, v0
	v_rcp_f32_e32 v0, v0
	v_mul_f32_e32 v0, 0x5f7ffffc, v0
	v_mul_f32_e32 v1, 0x2f800000, v0
	v_trunc_f32_e32 v1, v1
	v_madmk_f32 v0, v1, 0xcf800000, v0
	v_cvt_u32_f32_e32 v1, v1
	v_cvt_u32_f32_e32 v0, v0
	v_readfirstlane_b32 s26, v1
	v_readfirstlane_b32 s0, v0
	s_mul_i32 s1, s2, s26
	s_mul_hi_u32 s28, s2, s0
	s_mul_i32 s27, s3, s0
	s_add_i32 s1, s28, s1
	s_add_i32 s1, s1, s27
	s_mul_i32 s29, s2, s0
	s_mul_i32 s28, s0, s1
	s_mul_hi_u32 s30, s0, s29
	s_mul_hi_u32 s27, s0, s1
	s_add_u32 s28, s30, s28
	s_addc_u32 s27, 0, s27
	s_mul_hi_u32 s31, s26, s29
	s_mul_i32 s29, s26, s29
	s_add_u32 s28, s28, s29
	s_mul_hi_u32 s30, s26, s1
	s_addc_u32 s27, s27, s31
	s_addc_u32 s28, s30, 0
	s_mul_i32 s1, s26, s1
	s_add_u32 s1, s27, s1
	s_addc_u32 s27, 0, s28
	s_add_u32 s28, s0, s1
	s_cselect_b64 s[0:1], -1, 0
	s_cmp_lg_u64 s[0:1], 0
	s_addc_u32 s26, s26, s27
	s_mul_i32 s0, s2, s26
	s_mul_hi_u32 s1, s2, s28
	s_add_i32 s0, s1, s0
	s_mul_i32 s3, s3, s28
	s_add_i32 s0, s0, s3
	s_mul_i32 s2, s2, s28
	s_mul_hi_u32 s3, s26, s2
	s_mul_i32 s27, s26, s2
	s_mul_i32 s30, s28, s0
	s_mul_hi_u32 s2, s28, s2
	s_mul_hi_u32 s29, s28, s0
	s_add_u32 s2, s2, s30
	s_addc_u32 s29, 0, s29
	s_add_u32 s2, s2, s27
	s_mul_hi_u32 s1, s26, s0
	s_addc_u32 s2, s29, s3
	s_addc_u32 s1, s1, 0
	s_mul_i32 s0, s26, s0
	s_add_u32 s0, s2, s0
	s_addc_u32 s2, 0, s1
	s_add_u32 s3, s28, s0
	s_cselect_b64 s[0:1], -1, 0
	s_cmp_lg_u64 s[0:1], 0
	v_add_co_u32_e32 v0, vcc, v7, v4
	s_addc_u32 s2, s26, s2
	v_xor_b32_e32 v5, v0, v4
	v_mad_u64_u32 v[0:1], s[0:1], v5, s2, 0
	v_mul_hi_u32 v3, v5, s3
	v_addc_co_u32_e32 v2, vcc, v8, v4, vcc
	v_xor_b32_e32 v9, v2, v4
	v_add_co_u32_e32 v10, vcc, v3, v0
	v_addc_co_u32_e32 v11, vcc, 0, v1, vcc
	v_mad_u64_u32 v[0:1], s[0:1], v9, s3, 0
	v_mad_u64_u32 v[2:3], s[0:1], v9, s2, 0
	v_add_co_u32_e32 v0, vcc, v10, v0
	v_addc_co_u32_e32 v0, vcc, v11, v1, vcc
	v_addc_co_u32_e32 v1, vcc, 0, v3, vcc
	v_add_co_u32_e32 v0, vcc, v0, v2
	v_addc_co_u32_e32 v1, vcc, 0, v1, vcc
	v_mul_lo_u32 v2, s25, v0
	v_mul_lo_u32 v3, s24, v1
	v_mad_u64_u32 v[0:1], s[0:1], s24, v0, 0
	v_add3_u32 v1, v1, v3, v2
	v_sub_u32_e32 v2, v9, v1
	v_mov_b32_e32 v3, s25
	v_sub_co_u32_e32 v0, vcc, v5, v0
	v_subb_co_u32_e64 v2, s[0:1], v2, v3, vcc
	v_subrev_co_u32_e64 v5, s[0:1], s24, v0
	v_subbrev_co_u32_e64 v10, s[2:3], 0, v2, s[0:1]
	v_cmp_le_u32_e64 s[2:3], s25, v10
	v_cndmask_b32_e64 v11, 0, -1, s[2:3]
	v_cmp_le_u32_e64 s[2:3], s24, v5
	v_subb_co_u32_e64 v2, s[0:1], v2, v3, s[0:1]
	v_cndmask_b32_e64 v12, 0, -1, s[2:3]
	v_cmp_eq_u32_e64 s[2:3], s25, v10
	v_subrev_co_u32_e64 v3, s[0:1], s24, v5
	v_subb_co_u32_e32 v1, vcc, v9, v1, vcc
	v_cndmask_b32_e64 v11, v11, v12, s[2:3]
	v_subbrev_co_u32_e64 v2, s[0:1], 0, v2, s[0:1]
	v_cmp_le_u32_e32 vcc, s25, v1
	v_cmp_ne_u32_e64 s[0:1], 0, v11
	v_cndmask_b32_e64 v9, 0, -1, vcc
	v_cmp_le_u32_e32 vcc, s24, v0
	v_cndmask_b32_e64 v2, v10, v2, s[0:1]
	v_cndmask_b32_e64 v10, 0, -1, vcc
	v_cmp_eq_u32_e32 vcc, s25, v1
	v_cndmask_b32_e32 v9, v9, v10, vcc
	v_cmp_ne_u32_e32 vcc, 0, v9
	v_cndmask_b32_e32 v1, v1, v2, vcc
	v_cndmask_b32_e64 v2, v5, v3, s[0:1]
	v_cndmask_b32_e32 v0, v0, v2, vcc
	v_xor_b32_e32 v0, v0, v4
	v_xor_b32_e32 v1, v1, v4
	v_sub_co_u32_e32 v0, vcc, v0, v4
	v_subb_co_u32_e32 v1, vcc, v1, v4, vcc
.LBB0_6:
	s_or_saveexec_b64 s[0:1], s[6:7]
	s_load_dwordx4 s[36:39], s[34:35], 0x60
	s_load_dwordx8 s[24:31], s[34:35], 0x40
	s_xor_b64 exec, exec, s[0:1]
	s_cbranch_execz .LBB0_8
; %bb.7:
	v_cvt_f32_u32_e32 v0, s14
	s_sub_i32 s2, 0, s14
	v_rcp_iflag_f32_e32 v0, v0
	v_mul_f32_e32 v0, 0x4f7ffffe, v0
	v_cvt_u32_f32_e32 v0, v0
	v_mul_lo_u32 v1, s2, v0
	v_mul_hi_u32 v1, v0, v1
	v_add_u32_e32 v0, v0, v1
	v_mul_hi_u32 v0, v7, v0
	v_mul_lo_u32 v0, v0, s14
	v_sub_u32_e32 v0, v7, v0
	v_subrev_u32_e32 v1, s14, v0
	v_cmp_le_u32_e32 vcc, s14, v0
	v_cndmask_b32_e32 v0, v0, v1, vcc
	v_subrev_u32_e32 v1, s14, v0
	v_cmp_le_u32_e32 vcc, s14, v0
	v_cndmask_b32_e32 v0, v0, v1, vcc
	v_mov_b32_e32 v1, 0
.LBB0_8:
	s_or_b64 exec, exec, s[0:1]
	s_mul_i32 s0, s14, s13
	s_mul_hi_u32 s1, s14, s12
	s_add_i32 s0, s1, s0
	s_mul_i32 s1, s15, s12
	s_add_i32 s7, s0, s1
	s_mov_b32 s6, 0
	s_cmp_lg_u64 s[6:7], 0
	s_mul_i32 s6, s14, s12
	s_cbranch_scc0 .LBB0_46
; %bb.9:
	s_ashr_i32 s2, s7, 31
	s_add_u32 s0, s6, s2
	s_mov_b32 s3, s2
	s_addc_u32 s1, s7, s2
	s_xor_b64 s[34:35], s[0:1], s[2:3]
	v_cvt_f32_u32_e32 v2, s34
	v_cvt_f32_u32_e32 v3, s35
	s_sub_u32 s3, 0, s34
	s_subb_u32 s33, 0, s35
	v_add_co_u32_e32 v9, vcc, 0, v6
	v_madmk_f32 v2, v3, 0x4f800000, v2
	v_rcp_f32_e32 v2, v2
	v_mul_f32_e32 v2, 0x5f7ffffc, v2
	v_mul_f32_e32 v3, 0x2f800000, v2
	v_trunc_f32_e32 v3, v3
	v_madmk_f32 v2, v3, 0xcf800000, v2
	v_cvt_u32_f32_e32 v3, v3
	v_cvt_u32_f32_e32 v2, v2
	v_readfirstlane_b32 s40, v3
	v_readfirstlane_b32 s0, v2
	s_mul_i32 s1, s3, s40
	s_mul_hi_u32 s42, s3, s0
	s_mul_i32 s41, s33, s0
	s_add_i32 s1, s42, s1
	s_add_i32 s1, s1, s41
	s_mul_i32 s43, s3, s0
	s_mul_i32 s42, s0, s1
	s_mul_hi_u32 s44, s0, s43
	s_mul_hi_u32 s41, s0, s1
	s_add_u32 s42, s44, s42
	s_addc_u32 s41, 0, s41
	s_mul_hi_u32 s45, s40, s43
	s_mul_i32 s43, s40, s43
	s_add_u32 s42, s42, s43
	s_mul_hi_u32 s44, s40, s1
	s_addc_u32 s41, s41, s45
	s_addc_u32 s42, s44, 0
	s_mul_i32 s1, s40, s1
	s_add_u32 s1, s41, s1
	s_addc_u32 s41, 0, s42
	s_add_u32 s42, s0, s1
	s_cselect_b64 s[0:1], -1, 0
	s_cmp_lg_u64 s[0:1], 0
	s_addc_u32 s40, s40, s41
	s_mul_i32 s0, s3, s40
	s_mul_hi_u32 s1, s3, s42
	s_add_i32 s0, s1, s0
	s_mul_i32 s33, s33, s42
	s_add_i32 s0, s0, s33
	s_mul_i32 s3, s3, s42
	s_mul_hi_u32 s33, s40, s3
	s_mul_i32 s41, s40, s3
	s_mul_i32 s44, s42, s0
	s_mul_hi_u32 s3, s42, s3
	s_mul_hi_u32 s43, s42, s0
	s_add_u32 s3, s3, s44
	s_addc_u32 s43, 0, s43
	s_add_u32 s3, s3, s41
	s_mul_hi_u32 s1, s40, s0
	s_addc_u32 s3, s43, s33
	s_addc_u32 s1, s1, 0
	s_mul_i32 s0, s40, s0
	s_add_u32 s0, s3, s0
	s_addc_u32 s3, 0, s1
	s_add_u32 s33, s42, s0
	s_cselect_b64 s[0:1], -1, 0
	s_cmp_lg_u64 s[0:1], 0
	s_addc_u32 s3, s40, s3
	v_mad_u64_u32 v[2:3], s[0:1], v9, s3, 0
	v_mul_hi_u32 v4, v9, s33
	v_addc_co_u32_e64 v10, s[0:1], 0, 0, vcc
	v_add_co_u32_e32 v11, vcc, v4, v2
	v_addc_co_u32_e32 v12, vcc, 0, v3, vcc
	v_mad_u64_u32 v[2:3], s[0:1], v10, s33, 0
	v_mad_u64_u32 v[4:5], s[0:1], v10, s3, 0
	v_add_co_u32_e32 v2, vcc, v11, v2
	v_addc_co_u32_e32 v2, vcc, v12, v3, vcc
	v_addc_co_u32_e32 v3, vcc, 0, v5, vcc
	v_add_co_u32_e32 v4, vcc, v2, v4
	v_addc_co_u32_e32 v5, vcc, 0, v3, vcc
	v_mul_lo_u32 v11, s35, v4
	v_mul_lo_u32 v12, s34, v5
	v_mad_u64_u32 v[2:3], s[0:1], s34, v4, 0
	v_add3_u32 v3, v3, v12, v11
	v_sub_u32_e32 v11, v10, v3
	v_mov_b32_e32 v12, s35
	v_sub_co_u32_e32 v2, vcc, v9, v2
	v_subb_co_u32_e64 v9, s[0:1], v11, v12, vcc
	v_subrev_co_u32_e64 v11, s[0:1], s34, v2
	v_subbrev_co_u32_e64 v9, s[0:1], 0, v9, s[0:1]
	v_cmp_le_u32_e64 s[0:1], s35, v9
	v_cndmask_b32_e64 v12, 0, -1, s[0:1]
	v_cmp_le_u32_e64 s[0:1], s34, v11
	v_cndmask_b32_e64 v11, 0, -1, s[0:1]
	v_cmp_eq_u32_e64 s[0:1], s35, v9
	v_cndmask_b32_e64 v9, v12, v11, s[0:1]
	v_add_co_u32_e64 v11, s[0:1], 2, v4
	v_subb_co_u32_e32 v3, vcc, v10, v3, vcc
	v_addc_co_u32_e64 v12, s[0:1], 0, v5, s[0:1]
	v_cmp_le_u32_e32 vcc, s35, v3
	v_add_co_u32_e64 v13, s[0:1], 1, v4
	v_cndmask_b32_e64 v10, 0, -1, vcc
	v_cmp_le_u32_e32 vcc, s34, v2
	v_addc_co_u32_e64 v14, s[0:1], 0, v5, s[0:1]
	v_cndmask_b32_e64 v2, 0, -1, vcc
	v_cmp_eq_u32_e32 vcc, s35, v3
	v_cmp_ne_u32_e64 s[0:1], 0, v9
	v_cndmask_b32_e32 v2, v10, v2, vcc
	v_cmp_ne_u32_e32 vcc, 0, v2
	v_cndmask_b32_e64 v3, v13, v11, s[0:1]
	v_cndmask_b32_e64 v9, v14, v12, s[0:1]
	v_cndmask_b32_e32 v3, v4, v3, vcc
	v_cndmask_b32_e32 v2, v5, v9, vcc
	v_xor_b32_e32 v3, s2, v3
	v_xor_b32_e32 v2, s2, v2
	v_mov_b32_e32 v5, s2
	v_subrev_co_u32_e32 v4, vcc, s2, v3
	v_subb_co_u32_e32 v5, vcc, v2, v5, vcc
	s_cbranch_execnz .LBB0_11
.LBB0_10:
	v_cvt_f32_u32_e32 v2, s6
	s_sub_i32 s0, 0, s6
	v_rcp_iflag_f32_e32 v2, v2
	v_mul_f32_e32 v2, 0x4f7ffffe, v2
	v_cvt_u32_f32_e32 v2, v2
	v_mul_lo_u32 v3, s0, v2
	v_mul_hi_u32 v3, v2, v3
	v_add_u32_e32 v2, v2, v3
	v_mul_hi_u32 v2, v6, v2
	v_mul_lo_u32 v3, v2, s6
	v_add_u32_e32 v4, 1, v2
	v_sub_u32_e32 v3, v6, v3
	v_subrev_u32_e32 v5, s6, v3
	v_cmp_le_u32_e32 vcc, s6, v3
	v_cndmask_b32_e32 v3, v3, v5, vcc
	v_cndmask_b32_e32 v2, v2, v4, vcc
	v_add_u32_e32 v4, 1, v2
	v_cmp_le_u32_e32 vcc, s6, v3
	v_cndmask_b32_e32 v4, v2, v4, vcc
	v_mov_b32_e32 v5, 0
.LBB0_11:
	s_waitcnt lgkmcnt(0)
	v_or_b32_e32 v3, s39, v5
	v_mov_b32_e32 v2, 0
	v_cmp_ne_u64_e32 vcc, 0, v[2:3]
                                        ; implicit-def: $vgpr2_vgpr3
	s_and_saveexec_b64 s[0:1], vcc
	s_xor_b64 s[34:35], exec, s[0:1]
	s_cbranch_execz .LBB0_13
; %bb.12:
	s_ashr_i32 s0, s39, 31
	s_add_u32 s2, s38, s0
	s_mov_b32 s1, s0
	s_addc_u32 s3, s39, s0
	s_xor_b64 s[40:41], s[2:3], s[0:1]
	v_cvt_f32_u32_e32 v2, s40
	v_cvt_f32_u32_e32 v3, s41
	s_sub_u32 s2, 0, s40
	s_subb_u32 s3, 0, s41
	v_ashrrev_i32_e32 v9, 31, v5
	v_madmk_f32 v2, v3, 0x4f800000, v2
	v_rcp_f32_e32 v2, v2
	v_mul_f32_e32 v2, 0x5f7ffffc, v2
	v_mul_f32_e32 v3, 0x2f800000, v2
	v_trunc_f32_e32 v3, v3
	v_madmk_f32 v2, v3, 0xcf800000, v2
	v_cvt_u32_f32_e32 v3, v3
	v_cvt_u32_f32_e32 v2, v2
	v_readfirstlane_b32 s33, v3
	v_readfirstlane_b32 s0, v2
	s_mul_i32 s1, s2, s33
	s_mul_hi_u32 s43, s2, s0
	s_mul_i32 s42, s3, s0
	s_add_i32 s1, s43, s1
	s_add_i32 s1, s1, s42
	s_mul_i32 s44, s2, s0
	s_mul_i32 s43, s0, s1
	s_mul_hi_u32 s45, s0, s44
	s_mul_hi_u32 s42, s0, s1
	s_add_u32 s43, s45, s43
	s_addc_u32 s42, 0, s42
	s_mul_hi_u32 s46, s33, s44
	s_mul_i32 s44, s33, s44
	s_add_u32 s43, s43, s44
	s_mul_hi_u32 s45, s33, s1
	s_addc_u32 s42, s42, s46
	s_addc_u32 s43, s45, 0
	s_mul_i32 s1, s33, s1
	s_add_u32 s1, s42, s1
	s_addc_u32 s42, 0, s43
	s_add_u32 s43, s0, s1
	s_cselect_b64 s[0:1], -1, 0
	s_cmp_lg_u64 s[0:1], 0
	s_addc_u32 s33, s33, s42
	s_mul_i32 s0, s2, s33
	s_mul_hi_u32 s1, s2, s43
	s_add_i32 s0, s1, s0
	s_mul_i32 s3, s3, s43
	s_add_i32 s0, s0, s3
	s_mul_i32 s2, s2, s43
	s_mul_hi_u32 s3, s33, s2
	s_mul_i32 s42, s33, s2
	s_mul_i32 s45, s43, s0
	s_mul_hi_u32 s2, s43, s2
	s_mul_hi_u32 s44, s43, s0
	s_add_u32 s2, s2, s45
	s_addc_u32 s44, 0, s44
	s_add_u32 s2, s2, s42
	s_mul_hi_u32 s1, s33, s0
	s_addc_u32 s2, s44, s3
	s_addc_u32 s1, s1, 0
	s_mul_i32 s0, s33, s0
	s_add_u32 s0, s2, s0
	s_addc_u32 s2, 0, s1
	s_add_u32 s3, s43, s0
	s_cselect_b64 s[0:1], -1, 0
	s_cmp_lg_u64 s[0:1], 0
	v_add_co_u32_e32 v2, vcc, v4, v9
	s_addc_u32 s2, s33, s2
	v_xor_b32_e32 v10, v2, v9
	v_addc_co_u32_e32 v4, vcc, v5, v9, vcc
	v_mad_u64_u32 v[2:3], s[0:1], v10, s2, 0
	v_mul_hi_u32 v5, v10, s3
	v_xor_b32_e32 v11, v4, v9
	v_add_co_u32_e32 v12, vcc, v5, v2
	v_addc_co_u32_e32 v13, vcc, 0, v3, vcc
	v_mad_u64_u32 v[2:3], s[0:1], v11, s3, 0
	v_mad_u64_u32 v[4:5], s[0:1], v11, s2, 0
	v_add_co_u32_e32 v2, vcc, v12, v2
	v_addc_co_u32_e32 v2, vcc, v13, v3, vcc
	v_addc_co_u32_e32 v3, vcc, 0, v5, vcc
	v_add_co_u32_e32 v2, vcc, v2, v4
	v_addc_co_u32_e32 v3, vcc, 0, v3, vcc
	v_mul_lo_u32 v4, s41, v2
	v_mul_lo_u32 v5, s40, v3
	v_mad_u64_u32 v[2:3], s[0:1], s40, v2, 0
	v_add3_u32 v3, v3, v5, v4
	v_sub_u32_e32 v4, v11, v3
	v_mov_b32_e32 v5, s41
	v_sub_co_u32_e32 v2, vcc, v10, v2
	v_subb_co_u32_e64 v4, s[0:1], v4, v5, vcc
	v_subrev_co_u32_e64 v10, s[0:1], s40, v2
	v_subbrev_co_u32_e64 v12, s[2:3], 0, v4, s[0:1]
	v_cmp_le_u32_e64 s[2:3], s41, v12
	v_cndmask_b32_e64 v13, 0, -1, s[2:3]
	v_cmp_le_u32_e64 s[2:3], s40, v10
	v_subb_co_u32_e64 v4, s[0:1], v4, v5, s[0:1]
	v_cndmask_b32_e64 v14, 0, -1, s[2:3]
	v_cmp_eq_u32_e64 s[2:3], s41, v12
	v_subrev_co_u32_e64 v5, s[0:1], s40, v10
	v_subb_co_u32_e32 v3, vcc, v11, v3, vcc
	v_cndmask_b32_e64 v13, v13, v14, s[2:3]
	v_subbrev_co_u32_e64 v4, s[0:1], 0, v4, s[0:1]
	v_cmp_le_u32_e32 vcc, s41, v3
	v_cmp_ne_u32_e64 s[0:1], 0, v13
	v_cndmask_b32_e64 v11, 0, -1, vcc
	v_cmp_le_u32_e32 vcc, s40, v2
	v_cndmask_b32_e64 v4, v12, v4, s[0:1]
	v_cndmask_b32_e64 v12, 0, -1, vcc
	v_cmp_eq_u32_e32 vcc, s41, v3
	v_cndmask_b32_e32 v11, v11, v12, vcc
	v_cmp_ne_u32_e32 vcc, 0, v11
	v_cndmask_b32_e32 v3, v3, v4, vcc
	v_cndmask_b32_e64 v4, v10, v5, s[0:1]
	v_cndmask_b32_e32 v2, v2, v4, vcc
	v_xor_b32_e32 v2, v2, v9
	v_xor_b32_e32 v3, v3, v9
	v_sub_co_u32_e32 v2, vcc, v2, v9
	v_subb_co_u32_e32 v3, vcc, v3, v9, vcc
                                        ; implicit-def: $vgpr4_vgpr5
.LBB0_13:
	s_andn2_saveexec_b64 s[0:1], s[34:35]
	s_cbranch_execz .LBB0_15
; %bb.14:
	v_cvt_f32_u32_e32 v2, s38
	s_sub_i32 s2, 0, s38
	v_rcp_iflag_f32_e32 v2, v2
	v_mul_f32_e32 v2, 0x4f7ffffe, v2
	v_cvt_u32_f32_e32 v2, v2
	v_mul_lo_u32 v3, s2, v2
	v_mul_hi_u32 v3, v2, v3
	v_add_u32_e32 v2, v2, v3
	v_mul_hi_u32 v2, v4, v2
	v_mul_lo_u32 v2, v2, s38
	v_sub_u32_e32 v2, v4, v2
	v_subrev_u32_e32 v3, s38, v2
	v_cmp_le_u32_e32 vcc, s38, v2
	v_cndmask_b32_e32 v2, v2, v3, vcc
	v_subrev_u32_e32 v3, s38, v2
	v_cmp_le_u32_e32 vcc, s38, v2
	v_cndmask_b32_e32 v2, v2, v3, vcc
	v_mov_b32_e32 v3, 0
.LBB0_15:
	s_or_b64 exec, exec, s[0:1]
	s_mul_i32 s0, s38, s7
	s_mul_hi_u32 s1, s38, s6
	s_add_i32 s0, s1, s0
	s_mul_i32 s1, s39, s6
	s_add_i32 s1, s0, s1
	s_mov_b32 s0, 0
	s_cmp_lg_u64 s[0:1], 0
	s_mul_i32 s33, s38, s6
	s_cbranch_scc0 .LBB0_47
; %bb.16:
	s_ashr_i32 s2, s1, 31
	s_add_u32 s0, s33, s2
	s_mov_b32 s3, s2
	s_addc_u32 s1, s1, s2
	s_xor_b64 s[6:7], s[0:1], s[2:3]
	v_cvt_f32_u32_e32 v4, s6
	v_cvt_f32_u32_e32 v5, s7
	s_sub_u32 s3, 0, s6
	s_subb_u32 s34, 0, s7
	v_add_co_u32_e32 v11, vcc, 0, v6
	v_madmk_f32 v4, v5, 0x4f800000, v4
	v_rcp_f32_e32 v4, v4
	v_mul_f32_e32 v4, 0x5f7ffffc, v4
	v_mul_f32_e32 v5, 0x2f800000, v4
	v_trunc_f32_e32 v5, v5
	v_madmk_f32 v4, v5, 0xcf800000, v4
	v_cvt_u32_f32_e32 v5, v5
	v_cvt_u32_f32_e32 v4, v4
	v_readfirstlane_b32 s35, v5
	v_readfirstlane_b32 s0, v4
	s_mul_i32 s1, s3, s35
	s_mul_hi_u32 s41, s3, s0
	s_mul_i32 s40, s34, s0
	s_add_i32 s1, s41, s1
	s_add_i32 s1, s1, s40
	s_mul_i32 s42, s3, s0
	s_mul_i32 s41, s0, s1
	s_mul_hi_u32 s43, s0, s42
	s_mul_hi_u32 s40, s0, s1
	s_add_u32 s41, s43, s41
	s_addc_u32 s40, 0, s40
	s_mul_hi_u32 s44, s35, s42
	s_mul_i32 s42, s35, s42
	s_add_u32 s41, s41, s42
	s_mul_hi_u32 s43, s35, s1
	s_addc_u32 s40, s40, s44
	s_addc_u32 s41, s43, 0
	s_mul_i32 s1, s35, s1
	s_add_u32 s1, s40, s1
	s_addc_u32 s40, 0, s41
	s_add_u32 s41, s0, s1
	s_cselect_b64 s[0:1], -1, 0
	s_cmp_lg_u64 s[0:1], 0
	s_addc_u32 s35, s35, s40
	s_mul_i32 s0, s3, s35
	s_mul_hi_u32 s1, s3, s41
	s_add_i32 s0, s1, s0
	s_mul_i32 s34, s34, s41
	s_add_i32 s0, s0, s34
	s_mul_i32 s3, s3, s41
	s_mul_hi_u32 s34, s35, s3
	s_mul_i32 s40, s35, s3
	s_mul_i32 s43, s41, s0
	s_mul_hi_u32 s3, s41, s3
	s_mul_hi_u32 s42, s41, s0
	s_add_u32 s3, s3, s43
	s_addc_u32 s42, 0, s42
	s_add_u32 s3, s3, s40
	s_mul_hi_u32 s1, s35, s0
	s_addc_u32 s3, s42, s34
	s_addc_u32 s1, s1, 0
	s_mul_i32 s0, s35, s0
	s_add_u32 s0, s3, s0
	s_addc_u32 s3, 0, s1
	s_add_u32 s34, s41, s0
	s_cselect_b64 s[0:1], -1, 0
	s_cmp_lg_u64 s[0:1], 0
	s_addc_u32 s3, s35, s3
	v_mad_u64_u32 v[4:5], s[0:1], v11, s3, 0
	v_mul_hi_u32 v9, v11, s34
	v_addc_co_u32_e64 v12, s[0:1], 0, 0, vcc
	v_add_co_u32_e32 v13, vcc, v9, v4
	v_addc_co_u32_e32 v14, vcc, 0, v5, vcc
	v_mad_u64_u32 v[4:5], s[0:1], v12, s34, 0
	v_mad_u64_u32 v[9:10], s[0:1], v12, s3, 0
	v_add_co_u32_e32 v4, vcc, v13, v4
	v_addc_co_u32_e32 v4, vcc, v14, v5, vcc
	v_addc_co_u32_e32 v5, vcc, 0, v10, vcc
	v_add_co_u32_e32 v9, vcc, v4, v9
	v_addc_co_u32_e32 v10, vcc, 0, v5, vcc
	v_mul_lo_u32 v13, s7, v9
	v_mul_lo_u32 v14, s6, v10
	v_mad_u64_u32 v[4:5], s[0:1], s6, v9, 0
	v_add3_u32 v5, v5, v14, v13
	v_sub_u32_e32 v13, v12, v5
	v_mov_b32_e32 v14, s7
	v_sub_co_u32_e32 v4, vcc, v11, v4
	v_subb_co_u32_e64 v11, s[0:1], v13, v14, vcc
	v_subrev_co_u32_e64 v13, s[0:1], s6, v4
	v_subbrev_co_u32_e64 v11, s[0:1], 0, v11, s[0:1]
	v_cmp_le_u32_e64 s[0:1], s7, v11
	v_cndmask_b32_e64 v14, 0, -1, s[0:1]
	v_cmp_le_u32_e64 s[0:1], s6, v13
	v_cndmask_b32_e64 v13, 0, -1, s[0:1]
	v_cmp_eq_u32_e64 s[0:1], s7, v11
	v_cndmask_b32_e64 v11, v14, v13, s[0:1]
	v_add_co_u32_e64 v13, s[0:1], 2, v9
	v_subb_co_u32_e32 v5, vcc, v12, v5, vcc
	v_addc_co_u32_e64 v14, s[0:1], 0, v10, s[0:1]
	v_cmp_le_u32_e32 vcc, s7, v5
	v_add_co_u32_e64 v15, s[0:1], 1, v9
	v_cndmask_b32_e64 v12, 0, -1, vcc
	v_cmp_le_u32_e32 vcc, s6, v4
	v_addc_co_u32_e64 v16, s[0:1], 0, v10, s[0:1]
	v_cndmask_b32_e64 v4, 0, -1, vcc
	v_cmp_eq_u32_e32 vcc, s7, v5
	v_cmp_ne_u32_e64 s[0:1], 0, v11
	v_cndmask_b32_e32 v4, v12, v4, vcc
	v_cndmask_b32_e64 v11, v16, v14, s[0:1]
	v_cmp_ne_u32_e32 vcc, 0, v4
	v_cndmask_b32_e64 v5, v15, v13, s[0:1]
	v_cndmask_b32_e32 v4, v10, v11, vcc
	v_cndmask_b32_e32 v5, v9, v5, vcc
	v_xor_b32_e32 v9, s2, v4
	v_xor_b32_e32 v4, s2, v5
	v_mov_b32_e32 v5, s2
	v_subrev_co_u32_e32 v4, vcc, s2, v4
	v_subb_co_u32_e32 v5, vcc, v9, v5, vcc
	s_cbranch_execnz .LBB0_18
.LBB0_17:
	v_cvt_f32_u32_e32 v4, s33
	s_sub_i32 s0, 0, s33
	v_rcp_iflag_f32_e32 v4, v4
	v_mul_f32_e32 v4, 0x4f7ffffe, v4
	v_cvt_u32_f32_e32 v4, v4
	v_mul_lo_u32 v5, s0, v4
	v_mul_hi_u32 v5, v4, v5
	v_add_u32_e32 v4, v4, v5
	v_mul_hi_u32 v4, v6, v4
	v_mul_lo_u32 v5, v4, s33
	v_add_u32_e32 v9, 1, v4
	v_sub_u32_e32 v5, v6, v5
	v_subrev_u32_e32 v10, s33, v5
	v_cmp_le_u32_e32 vcc, s33, v5
	v_cndmask_b32_e32 v5, v5, v10, vcc
	v_cndmask_b32_e32 v4, v4, v9, vcc
	v_add_u32_e32 v9, 1, v4
	v_cmp_le_u32_e32 vcc, s33, v5
	v_cndmask_b32_e32 v4, v4, v9, vcc
	v_mov_b32_e32 v5, 0
.LBB0_18:
	v_mul_lo_u32 v9, v8, s12
	v_mul_lo_u32 v10, v7, s13
	v_mad_u64_u32 v[7:8], s[0:1], v7, s12, 0
	s_load_dwordx2 s[34:35], s[4:5], 0x10
	v_cmp_lt_i64_e64 s[0:1], s[36:37], 1
	v_add3_u32 v8, v8, v10, v9
	v_sub_co_u32_e32 v6, vcc, v6, v7
	v_subb_co_u32_e32 v7, vcc, 0, v8, vcc
	s_and_b64 vcc, exec, s[0:1]
	s_cbranch_vccnz .LBB0_48
; %bb.19:
	v_mul_lo_u32 v10, v1, s22
	v_mul_lo_u32 v11, v0, s23
	v_mad_u64_u32 v[8:9], s[0:1], v0, s22, 0
	s_add_u32 s0, s26, s30
	s_addc_u32 s1, s27, s31
	v_add3_u32 v9, v9, v11, v10
	v_not_b32_e32 v10, v8
	v_not_b32_e32 v9, v9
	v_mov_b32_e32 v12, s1
	v_add_co_u32_e32 v11, vcc, s0, v10
	v_addc_co_u32_e32 v12, vcc, v9, v12, vcc
	v_or_b32_e32 v10, s31, v12
	v_mov_b32_e32 v9, 0
	v_cmp_ne_u64_e32 vcc, 0, v[9:10]
                                        ; implicit-def: $vgpr9_vgpr10
	s_and_saveexec_b64 s[0:1], vcc
	s_xor_b64 s[2:3], exec, s[0:1]
	s_cbranch_execz .LBB0_21
; %bb.20:
	s_ashr_i32 s6, s31, 31
	s_add_u32 s0, s30, s6
	s_mov_b32 s7, s6
	s_addc_u32 s1, s31, s6
	s_xor_b64 s[22:23], s[0:1], s[6:7]
	v_cvt_f32_u32_e32 v9, s22
	v_cvt_f32_u32_e32 v10, s23
	s_sub_u32 s7, 0, s22
	s_subb_u32 s27, 0, s23
	v_ashrrev_i32_e32 v15, 31, v12
	v_madmk_f32 v9, v10, 0x4f800000, v9
	v_rcp_f32_e32 v9, v9
	v_mul_f32_e32 v9, 0x5f7ffffc, v9
	v_mul_f32_e32 v10, 0x2f800000, v9
	v_trunc_f32_e32 v10, v10
	v_madmk_f32 v9, v10, 0xcf800000, v9
	v_cvt_u32_f32_e32 v10, v10
	v_cvt_u32_f32_e32 v9, v9
	v_readfirstlane_b32 s33, v10
	v_readfirstlane_b32 s0, v9
	s_mul_i32 s1, s7, s33
	s_mul_hi_u32 s41, s7, s0
	s_mul_i32 s40, s27, s0
	s_add_i32 s1, s41, s1
	s_add_i32 s1, s1, s40
	s_mul_i32 s42, s7, s0
	s_mul_i32 s41, s0, s1
	s_mul_hi_u32 s43, s0, s42
	s_mul_hi_u32 s40, s0, s1
	s_add_u32 s41, s43, s41
	s_addc_u32 s40, 0, s40
	s_mul_hi_u32 s44, s33, s42
	s_mul_i32 s42, s33, s42
	s_add_u32 s41, s41, s42
	s_mul_hi_u32 s43, s33, s1
	s_addc_u32 s40, s40, s44
	s_addc_u32 s41, s43, 0
	s_mul_i32 s1, s33, s1
	s_add_u32 s1, s40, s1
	s_addc_u32 s40, 0, s41
	s_add_u32 s41, s0, s1
	s_cselect_b64 s[0:1], -1, 0
	s_cmp_lg_u64 s[0:1], 0
	s_addc_u32 s33, s33, s40
	s_mul_i32 s0, s7, s33
	s_mul_hi_u32 s1, s7, s41
	s_add_i32 s0, s1, s0
	s_mul_i32 s27, s27, s41
	s_add_i32 s0, s0, s27
	s_mul_i32 s7, s7, s41
	s_mul_hi_u32 s27, s33, s7
	s_mul_i32 s40, s33, s7
	s_mul_i32 s43, s41, s0
	s_mul_hi_u32 s7, s41, s7
	s_mul_hi_u32 s42, s41, s0
	s_add_u32 s7, s7, s43
	s_addc_u32 s42, 0, s42
	s_add_u32 s7, s7, s40
	s_mul_hi_u32 s1, s33, s0
	s_addc_u32 s7, s42, s27
	s_addc_u32 s1, s1, 0
	s_mul_i32 s0, s33, s0
	s_add_u32 s0, s7, s0
	s_addc_u32 s7, 0, s1
	s_add_u32 s27, s41, s0
	s_cselect_b64 s[0:1], -1, 0
	s_cmp_lg_u64 s[0:1], 0
	v_add_co_u32_e32 v9, vcc, v11, v15
	s_addc_u32 s7, s33, s7
	v_xor_b32_e32 v16, v9, v15
	v_mad_u64_u32 v[9:10], s[0:1], v16, s7, 0
	v_mul_hi_u32 v14, v16, s27
	v_addc_co_u32_e32 v13, vcc, v12, v15, vcc
	v_xor_b32_e32 v17, v13, v15
	v_add_co_u32_e32 v18, vcc, v14, v9
	v_addc_co_u32_e32 v19, vcc, 0, v10, vcc
	v_mad_u64_u32 v[9:10], s[0:1], v17, s27, 0
	v_mad_u64_u32 v[13:14], s[0:1], v17, s7, 0
	v_add_co_u32_e32 v9, vcc, v18, v9
	v_addc_co_u32_e32 v9, vcc, v19, v10, vcc
	v_addc_co_u32_e32 v10, vcc, 0, v14, vcc
	v_add_co_u32_e32 v13, vcc, v9, v13
	v_addc_co_u32_e32 v14, vcc, 0, v10, vcc
	v_mul_lo_u32 v18, s23, v13
	v_mul_lo_u32 v19, s22, v14
	v_mad_u64_u32 v[9:10], s[0:1], s22, v13, 0
	v_add3_u32 v10, v10, v19, v18
	v_sub_u32_e32 v18, v17, v10
	v_mov_b32_e32 v19, s23
	v_sub_co_u32_e32 v9, vcc, v16, v9
	v_subb_co_u32_e64 v16, s[0:1], v18, v19, vcc
	v_subrev_co_u32_e64 v18, s[0:1], s22, v9
	v_subbrev_co_u32_e64 v16, s[0:1], 0, v16, s[0:1]
	v_cmp_le_u32_e64 s[0:1], s23, v16
	v_cndmask_b32_e64 v19, 0, -1, s[0:1]
	v_cmp_le_u32_e64 s[0:1], s22, v18
	v_cndmask_b32_e64 v18, 0, -1, s[0:1]
	v_cmp_eq_u32_e64 s[0:1], s23, v16
	v_cndmask_b32_e64 v16, v19, v18, s[0:1]
	v_add_co_u32_e64 v18, s[0:1], 2, v13
	v_subb_co_u32_e32 v10, vcc, v17, v10, vcc
	v_addc_co_u32_e64 v19, s[0:1], 0, v14, s[0:1]
	v_cmp_le_u32_e32 vcc, s23, v10
	v_add_co_u32_e64 v20, s[0:1], 1, v13
	v_cndmask_b32_e64 v17, 0, -1, vcc
	v_cmp_le_u32_e32 vcc, s22, v9
	v_addc_co_u32_e64 v21, s[0:1], 0, v14, s[0:1]
	v_cndmask_b32_e64 v9, 0, -1, vcc
	v_cmp_eq_u32_e32 vcc, s23, v10
	v_cmp_ne_u32_e64 s[0:1], 0, v16
	v_cndmask_b32_e32 v9, v17, v9, vcc
	v_cndmask_b32_e64 v16, v21, v19, s[0:1]
	v_cmp_ne_u32_e32 vcc, 0, v9
	v_cndmask_b32_e64 v10, v20, v18, s[0:1]
	v_cndmask_b32_e32 v9, v14, v16, vcc
	v_cndmask_b32_e32 v10, v13, v10, vcc
	v_xor_b32_e32 v13, s6, v15
	v_xor_b32_e32 v14, v9, v13
	;; [unrolled: 1-line block ×3, first 2 shown]
	v_sub_co_u32_e32 v9, vcc, v9, v13
	v_subb_co_u32_e32 v10, vcc, v14, v13, vcc
.LBB0_21:
	s_or_saveexec_b64 s[0:1], s[2:3]
	v_cvt_f32_u32_e32 v15, s30
	s_xor_b64 exec, exec, s[0:1]
	s_cbranch_execz .LBB0_23
; %bb.22:
	v_rcp_iflag_f32_e32 v9, v15
	s_sub_i32 s2, 0, s30
	v_mul_f32_e32 v9, 0x4f7ffffe, v9
	v_cvt_u32_f32_e32 v9, v9
	v_mul_lo_u32 v10, s2, v9
	v_mul_hi_u32 v10, v9, v10
	v_add_u32_e32 v9, v9, v10
	v_mul_hi_u32 v9, v11, v9
	v_mul_lo_u32 v10, v9, s30
	v_add_u32_e32 v13, 1, v9
	v_sub_u32_e32 v10, v11, v10
	v_subrev_u32_e32 v14, s30, v10
	v_cmp_le_u32_e32 vcc, s30, v10
	v_cndmask_b32_e32 v10, v10, v14, vcc
	v_cndmask_b32_e32 v9, v9, v13, vcc
	v_add_u32_e32 v13, 1, v9
	v_cmp_le_u32_e32 vcc, s30, v10
	v_cndmask_b32_e32 v9, v9, v13, vcc
	v_mov_b32_e32 v10, 0
.LBB0_23:
	s_or_b64 exec, exec, s[0:1]
	v_mov_b32_e32 v13, s11
	v_add_co_u32_e32 v11, vcc, s10, v11
	v_addc_co_u32_e32 v12, vcc, v12, v13, vcc
	v_or_b32_e32 v14, s31, v12
	v_mov_b32_e32 v13, 0
	v_cmp_ne_u64_e32 vcc, 0, v[13:14]
                                        ; implicit-def: $vgpr13_vgpr14
	s_and_saveexec_b64 s[0:1], vcc
	s_xor_b64 s[2:3], exec, s[0:1]
	s_cbranch_execz .LBB0_25
; %bb.24:
	s_ashr_i32 s6, s31, 31
	s_add_u32 s0, s30, s6
	s_mov_b32 s7, s6
	s_addc_u32 s1, s31, s6
	s_xor_b64 s[22:23], s[0:1], s[6:7]
	v_cvt_f32_u32_e32 v13, s22
	v_cvt_f32_u32_e32 v14, s23
	s_sub_u32 s7, 0, s22
	s_subb_u32 s27, 0, s23
	v_ashrrev_i32_e32 v15, 31, v12
	v_madmk_f32 v13, v14, 0x4f800000, v13
	v_rcp_f32_e32 v13, v13
	v_add_co_u32_e32 v11, vcc, v11, v15
	v_xor_b32_e32 v16, v11, v15
	v_mul_f32_e32 v13, 0x5f7ffffc, v13
	v_mul_f32_e32 v14, 0x2f800000, v13
	v_trunc_f32_e32 v14, v14
	v_madmk_f32 v13, v14, 0xcf800000, v13
	v_cvt_u32_f32_e32 v14, v14
	v_cvt_u32_f32_e32 v13, v13
	v_readfirstlane_b32 s31, v14
	v_readfirstlane_b32 s0, v13
	s_mul_i32 s1, s7, s31
	s_mul_hi_u32 s40, s7, s0
	s_mul_i32 s33, s27, s0
	s_add_i32 s1, s40, s1
	s_add_i32 s1, s1, s33
	s_mul_i32 s41, s7, s0
	s_mul_i32 s40, s0, s1
	s_mul_hi_u32 s42, s0, s41
	s_mul_hi_u32 s33, s0, s1
	s_add_u32 s40, s42, s40
	s_addc_u32 s33, 0, s33
	s_mul_hi_u32 s43, s31, s41
	s_mul_i32 s41, s31, s41
	s_add_u32 s40, s40, s41
	s_mul_hi_u32 s42, s31, s1
	s_addc_u32 s33, s33, s43
	s_addc_u32 s40, s42, 0
	s_mul_i32 s1, s31, s1
	s_add_u32 s1, s33, s1
	s_addc_u32 s33, 0, s40
	s_add_u32 s40, s0, s1
	s_cselect_b64 s[0:1], -1, 0
	s_cmp_lg_u64 s[0:1], 0
	s_addc_u32 s31, s31, s33
	s_mul_i32 s0, s7, s31
	s_mul_hi_u32 s1, s7, s40
	s_add_i32 s0, s1, s0
	s_mul_i32 s27, s27, s40
	s_add_i32 s0, s0, s27
	s_mul_i32 s7, s7, s40
	s_mul_hi_u32 s27, s31, s7
	s_mul_i32 s33, s31, s7
	s_mul_i32 s42, s40, s0
	s_mul_hi_u32 s7, s40, s7
	s_mul_hi_u32 s41, s40, s0
	s_add_u32 s7, s7, s42
	s_addc_u32 s41, 0, s41
	s_add_u32 s7, s7, s33
	s_mul_hi_u32 s1, s31, s0
	s_addc_u32 s7, s41, s27
	s_addc_u32 s1, s1, 0
	s_mul_i32 s0, s31, s0
	s_add_u32 s0, s7, s0
	s_addc_u32 s7, 0, s1
	s_add_u32 s27, s40, s0
	s_cselect_b64 s[0:1], -1, 0
	s_cmp_lg_u64 s[0:1], 0
	s_addc_u32 s7, s31, s7
	v_addc_co_u32_e32 v13, vcc, v12, v15, vcc
	v_mad_u64_u32 v[11:12], s[0:1], v16, s7, 0
	v_mul_hi_u32 v14, v16, s27
	v_xor_b32_e32 v17, v13, v15
	v_add_co_u32_e32 v18, vcc, v14, v11
	v_addc_co_u32_e32 v19, vcc, 0, v12, vcc
	v_mad_u64_u32 v[11:12], s[0:1], v17, s27, 0
	v_mad_u64_u32 v[13:14], s[0:1], v17, s7, 0
	v_add_co_u32_e32 v11, vcc, v18, v11
	v_addc_co_u32_e32 v11, vcc, v19, v12, vcc
	v_addc_co_u32_e32 v12, vcc, 0, v14, vcc
	v_add_co_u32_e32 v13, vcc, v11, v13
	v_addc_co_u32_e32 v14, vcc, 0, v12, vcc
	v_mul_lo_u32 v18, s23, v13
	v_mul_lo_u32 v19, s22, v14
	v_mad_u64_u32 v[11:12], s[0:1], s22, v13, 0
	v_add3_u32 v12, v12, v19, v18
	v_sub_u32_e32 v18, v17, v12
	v_mov_b32_e32 v19, s23
	v_sub_co_u32_e32 v11, vcc, v16, v11
	v_subb_co_u32_e64 v16, s[0:1], v18, v19, vcc
	v_subrev_co_u32_e64 v18, s[0:1], s22, v11
	v_subbrev_co_u32_e64 v16, s[0:1], 0, v16, s[0:1]
	v_cmp_le_u32_e64 s[0:1], s23, v16
	v_cndmask_b32_e64 v19, 0, -1, s[0:1]
	v_cmp_le_u32_e64 s[0:1], s22, v18
	v_cndmask_b32_e64 v18, 0, -1, s[0:1]
	v_cmp_eq_u32_e64 s[0:1], s23, v16
	v_cndmask_b32_e64 v16, v19, v18, s[0:1]
	v_add_co_u32_e64 v18, s[0:1], 2, v13
	v_subb_co_u32_e32 v12, vcc, v17, v12, vcc
	v_addc_co_u32_e64 v19, s[0:1], 0, v14, s[0:1]
	v_cmp_le_u32_e32 vcc, s23, v12
	v_add_co_u32_e64 v20, s[0:1], 1, v13
	v_cndmask_b32_e64 v17, 0, -1, vcc
	v_cmp_le_u32_e32 vcc, s22, v11
	v_addc_co_u32_e64 v21, s[0:1], 0, v14, s[0:1]
	v_cndmask_b32_e64 v11, 0, -1, vcc
	v_cmp_eq_u32_e32 vcc, s23, v12
	v_cmp_ne_u32_e64 s[0:1], 0, v16
	v_cndmask_b32_e32 v11, v17, v11, vcc
	v_cndmask_b32_e64 v16, v21, v19, s[0:1]
	v_cmp_ne_u32_e32 vcc, 0, v11
	v_cndmask_b32_e64 v12, v20, v18, s[0:1]
	v_cndmask_b32_e32 v11, v14, v16, vcc
	v_cndmask_b32_e32 v12, v13, v12, vcc
	v_xor_b32_e32 v14, s6, v15
	v_xor_b32_e32 v12, v12, v14
	;; [unrolled: 1-line block ×3, first 2 shown]
	v_sub_co_u32_e32 v13, vcc, v12, v14
	v_subb_co_u32_e32 v14, vcc, v11, v14, vcc
                                        ; implicit-def: $vgpr15
                                        ; implicit-def: $vgpr11
.LBB0_25:
	s_andn2_saveexec_b64 s[0:1], s[2:3]
	s_cbranch_execz .LBB0_27
; %bb.26:
	v_rcp_iflag_f32_e32 v12, v15
	s_sub_i32 s2, 0, s30
	v_mul_f32_e32 v12, 0x4f7ffffe, v12
	v_cvt_u32_f32_e32 v12, v12
	v_mul_lo_u32 v13, s2, v12
	v_mul_hi_u32 v13, v12, v13
	v_add_u32_e32 v12, v12, v13
	v_mul_hi_u32 v12, v11, v12
	v_mul_lo_u32 v13, v12, s30
	v_add_u32_e32 v14, 1, v12
	v_sub_u32_e32 v11, v11, v13
	v_subrev_u32_e32 v13, s30, v11
	v_cmp_le_u32_e32 vcc, s30, v11
	v_cndmask_b32_e32 v11, v11, v13, vcc
	v_cndmask_b32_e32 v12, v12, v14, vcc
	v_add_u32_e32 v13, 1, v12
	v_cmp_le_u32_e32 vcc, s30, v11
	v_cndmask_b32_e32 v13, v12, v13, vcc
	v_mov_b32_e32 v14, 0
.LBB0_27:
	s_or_b64 exec, exec, s[0:1]
	v_mul_lo_u32 v15, v7, s20
	v_mul_lo_u32 v16, v6, s21
	v_mad_u64_u32 v[11:12], s[0:1], v6, s20, 0
	s_add_u32 s0, s24, s28
	s_addc_u32 s1, s25, s29
	v_add3_u32 v12, v12, v16, v15
	v_not_b32_e32 v15, v12
	v_not_b32_e32 v12, v11
	v_mov_b32_e32 v16, s1
	v_add_co_u32_e32 v12, vcc, s0, v12
	v_addc_co_u32_e32 v17, vcc, v15, v16, vcc
	v_or_b32_e32 v16, s29, v17
	v_mov_b32_e32 v15, 0
	v_cmp_ne_u64_e32 vcc, 0, v[15:16]
                                        ; implicit-def: $vgpr15_vgpr16
	s_and_saveexec_b64 s[0:1], vcc
	s_xor_b64 s[2:3], exec, s[0:1]
	s_cbranch_execz .LBB0_29
; %bb.28:
	s_ashr_i32 s6, s29, 31
	s_add_u32 s0, s28, s6
	s_mov_b32 s7, s6
	s_addc_u32 s1, s29, s6
	s_xor_b64 s[20:21], s[0:1], s[6:7]
	v_cvt_f32_u32_e32 v15, s20
	v_cvt_f32_u32_e32 v16, s21
	s_sub_u32 s7, 0, s20
	s_subb_u32 s22, 0, s21
	v_ashrrev_i32_e32 v20, 31, v17
	v_madmk_f32 v15, v16, 0x4f800000, v15
	v_rcp_f32_e32 v15, v15
	v_mul_f32_e32 v15, 0x5f7ffffc, v15
	v_mul_f32_e32 v16, 0x2f800000, v15
	v_trunc_f32_e32 v16, v16
	v_madmk_f32 v15, v16, 0xcf800000, v15
	v_cvt_u32_f32_e32 v16, v16
	v_cvt_u32_f32_e32 v15, v15
	v_readfirstlane_b32 s23, v16
	v_readfirstlane_b32 s0, v15
	s_mul_i32 s1, s7, s23
	s_mul_hi_u32 s27, s7, s0
	s_mul_i32 s25, s22, s0
	s_add_i32 s1, s27, s1
	s_add_i32 s1, s1, s25
	s_mul_i32 s31, s7, s0
	s_mul_i32 s27, s0, s1
	s_mul_hi_u32 s33, s0, s31
	s_mul_hi_u32 s25, s0, s1
	s_add_u32 s27, s33, s27
	s_addc_u32 s25, 0, s25
	s_mul_hi_u32 s40, s23, s31
	s_mul_i32 s31, s23, s31
	s_add_u32 s27, s27, s31
	s_mul_hi_u32 s33, s23, s1
	s_addc_u32 s25, s25, s40
	s_addc_u32 s27, s33, 0
	s_mul_i32 s1, s23, s1
	s_add_u32 s1, s25, s1
	s_addc_u32 s25, 0, s27
	s_add_u32 s27, s0, s1
	s_cselect_b64 s[0:1], -1, 0
	s_cmp_lg_u64 s[0:1], 0
	s_addc_u32 s23, s23, s25
	s_mul_i32 s0, s7, s23
	s_mul_hi_u32 s1, s7, s27
	s_add_i32 s0, s1, s0
	s_mul_i32 s22, s22, s27
	s_add_i32 s0, s0, s22
	s_mul_i32 s7, s7, s27
	s_mul_hi_u32 s22, s23, s7
	s_mul_i32 s25, s23, s7
	s_mul_i32 s33, s27, s0
	s_mul_hi_u32 s7, s27, s7
	s_mul_hi_u32 s31, s27, s0
	s_add_u32 s7, s7, s33
	s_addc_u32 s31, 0, s31
	s_add_u32 s7, s7, s25
	s_mul_hi_u32 s1, s23, s0
	s_addc_u32 s7, s31, s22
	s_addc_u32 s1, s1, 0
	s_mul_i32 s0, s23, s0
	s_add_u32 s0, s7, s0
	s_addc_u32 s7, 0, s1
	s_add_u32 s22, s27, s0
	s_cselect_b64 s[0:1], -1, 0
	s_cmp_lg_u64 s[0:1], 0
	v_add_co_u32_e32 v15, vcc, v12, v20
	s_addc_u32 s7, s23, s7
	v_xor_b32_e32 v21, v15, v20
	v_mad_u64_u32 v[15:16], s[0:1], v21, s7, 0
	v_mul_hi_u32 v19, v21, s22
	v_addc_co_u32_e32 v18, vcc, v17, v20, vcc
	v_xor_b32_e32 v22, v18, v20
	v_add_co_u32_e32 v23, vcc, v19, v15
	v_addc_co_u32_e32 v24, vcc, 0, v16, vcc
	v_mad_u64_u32 v[15:16], s[0:1], v22, s22, 0
	v_mad_u64_u32 v[18:19], s[0:1], v22, s7, 0
	v_add_co_u32_e32 v15, vcc, v23, v15
	v_addc_co_u32_e32 v15, vcc, v24, v16, vcc
	v_addc_co_u32_e32 v16, vcc, 0, v19, vcc
	v_add_co_u32_e32 v18, vcc, v15, v18
	v_addc_co_u32_e32 v19, vcc, 0, v16, vcc
	v_mul_lo_u32 v23, s21, v18
	v_mul_lo_u32 v24, s20, v19
	v_mad_u64_u32 v[15:16], s[0:1], s20, v18, 0
	v_add3_u32 v16, v16, v24, v23
	v_sub_u32_e32 v23, v22, v16
	v_mov_b32_e32 v24, s21
	v_sub_co_u32_e32 v15, vcc, v21, v15
	v_subb_co_u32_e64 v21, s[0:1], v23, v24, vcc
	v_subrev_co_u32_e64 v23, s[0:1], s20, v15
	v_subbrev_co_u32_e64 v21, s[0:1], 0, v21, s[0:1]
	v_cmp_le_u32_e64 s[0:1], s21, v21
	v_cndmask_b32_e64 v24, 0, -1, s[0:1]
	v_cmp_le_u32_e64 s[0:1], s20, v23
	v_cndmask_b32_e64 v23, 0, -1, s[0:1]
	v_cmp_eq_u32_e64 s[0:1], s21, v21
	v_cndmask_b32_e64 v21, v24, v23, s[0:1]
	v_add_co_u32_e64 v23, s[0:1], 2, v18
	v_subb_co_u32_e32 v16, vcc, v22, v16, vcc
	v_addc_co_u32_e64 v24, s[0:1], 0, v19, s[0:1]
	v_cmp_le_u32_e32 vcc, s21, v16
	v_add_co_u32_e64 v25, s[0:1], 1, v18
	v_cndmask_b32_e64 v22, 0, -1, vcc
	v_cmp_le_u32_e32 vcc, s20, v15
	v_addc_co_u32_e64 v26, s[0:1], 0, v19, s[0:1]
	v_cndmask_b32_e64 v15, 0, -1, vcc
	v_cmp_eq_u32_e32 vcc, s21, v16
	v_cmp_ne_u32_e64 s[0:1], 0, v21
	v_cndmask_b32_e32 v15, v22, v15, vcc
	v_cndmask_b32_e64 v21, v26, v24, s[0:1]
	v_cmp_ne_u32_e32 vcc, 0, v15
	v_cndmask_b32_e64 v16, v25, v23, s[0:1]
	v_cndmask_b32_e32 v15, v19, v21, vcc
	v_cndmask_b32_e32 v16, v18, v16, vcc
	v_xor_b32_e32 v18, s6, v20
	v_xor_b32_e32 v19, v15, v18
	v_xor_b32_e32 v15, v16, v18
	v_sub_co_u32_e32 v15, vcc, v15, v18
	v_subb_co_u32_e32 v16, vcc, v19, v18, vcc
.LBB0_29:
	s_or_saveexec_b64 s[0:1], s[2:3]
	v_cvt_f32_u32_e32 v20, s28
	s_xor_b64 exec, exec, s[0:1]
	s_cbranch_execz .LBB0_31
; %bb.30:
	v_rcp_iflag_f32_e32 v15, v20
	s_sub_i32 s2, 0, s28
	v_mul_f32_e32 v15, 0x4f7ffffe, v15
	v_cvt_u32_f32_e32 v15, v15
	v_mul_lo_u32 v16, s2, v15
	v_mul_hi_u32 v16, v15, v16
	v_add_u32_e32 v15, v15, v16
	v_mul_hi_u32 v15, v12, v15
	v_mul_lo_u32 v16, v15, s28
	v_add_u32_e32 v18, 1, v15
	v_sub_u32_e32 v16, v12, v16
	v_subrev_u32_e32 v19, s28, v16
	v_cmp_le_u32_e32 vcc, s28, v16
	v_cndmask_b32_e32 v16, v16, v19, vcc
	v_cndmask_b32_e32 v15, v15, v18, vcc
	v_add_u32_e32 v18, 1, v15
	v_cmp_le_u32_e32 vcc, s28, v16
	v_cndmask_b32_e32 v15, v15, v18, vcc
	v_mov_b32_e32 v16, 0
.LBB0_31:
	s_or_b64 exec, exec, s[0:1]
	s_load_dwordx2 s[6:7], s[4:5], 0x8
	v_mov_b32_e32 v18, s9
	v_add_co_u32_e32 v12, vcc, s8, v12
	v_addc_co_u32_e32 v19, vcc, v17, v18, vcc
	v_or_b32_e32 v18, s29, v19
	v_mov_b32_e32 v17, 0
	v_cmp_ne_u64_e32 vcc, 0, v[17:18]
                                        ; implicit-def: $vgpr17_vgpr18
	s_and_saveexec_b64 s[0:1], vcc
	s_xor_b64 s[2:3], exec, s[0:1]
	s_cbranch_execz .LBB0_33
; %bb.32:
	s_ashr_i32 s20, s29, 31
	s_add_u32 s0, s28, s20
	s_mov_b32 s21, s20
	s_addc_u32 s1, s29, s20
	s_xor_b64 s[22:23], s[0:1], s[20:21]
	v_cvt_f32_u32_e32 v17, s22
	v_cvt_f32_u32_e32 v18, s23
	s_sub_u32 s21, 0, s22
	s_subb_u32 s25, 0, s23
	v_ashrrev_i32_e32 v21, 31, v19
	v_madmk_f32 v17, v18, 0x4f800000, v17
	v_rcp_f32_e32 v17, v17
	v_add_co_u32_e32 v12, vcc, v12, v21
	v_xor_b32_e32 v12, v12, v21
	v_mul_f32_e32 v17, 0x5f7ffffc, v17
	v_mul_f32_e32 v18, 0x2f800000, v17
	v_trunc_f32_e32 v18, v18
	v_madmk_f32 v17, v18, 0xcf800000, v17
	v_cvt_u32_f32_e32 v18, v18
	v_cvt_u32_f32_e32 v17, v17
	v_addc_co_u32_e32 v19, vcc, v19, v21, vcc
	v_readfirstlane_b32 s27, v18
	v_readfirstlane_b32 s0, v17
	s_mul_i32 s1, s21, s27
	s_mul_hi_u32 s31, s21, s0
	s_mul_i32 s29, s25, s0
	s_add_i32 s1, s31, s1
	s_add_i32 s1, s1, s29
	s_mul_i32 s33, s21, s0
	s_mul_i32 s31, s0, s1
	s_mul_hi_u32 s40, s0, s33
	s_mul_hi_u32 s29, s0, s1
	s_add_u32 s31, s40, s31
	s_addc_u32 s29, 0, s29
	s_mul_hi_u32 s41, s27, s33
	s_mul_i32 s33, s27, s33
	s_add_u32 s31, s31, s33
	s_mul_hi_u32 s40, s27, s1
	s_addc_u32 s29, s29, s41
	s_addc_u32 s31, s40, 0
	s_mul_i32 s1, s27, s1
	s_add_u32 s1, s29, s1
	s_addc_u32 s29, 0, s31
	s_add_u32 s31, s0, s1
	s_cselect_b64 s[0:1], -1, 0
	s_cmp_lg_u64 s[0:1], 0
	s_addc_u32 s27, s27, s29
	s_mul_i32 s0, s21, s27
	s_mul_hi_u32 s1, s21, s31
	s_add_i32 s0, s1, s0
	s_mul_i32 s25, s25, s31
	s_add_i32 s0, s0, s25
	s_mul_i32 s21, s21, s31
	s_mul_hi_u32 s25, s27, s21
	s_mul_i32 s29, s27, s21
	s_mul_i32 s40, s31, s0
	s_mul_hi_u32 s21, s31, s21
	s_mul_hi_u32 s33, s31, s0
	s_add_u32 s21, s21, s40
	s_addc_u32 s33, 0, s33
	s_add_u32 s21, s21, s29
	s_mul_hi_u32 s1, s27, s0
	s_addc_u32 s21, s33, s25
	s_addc_u32 s1, s1, 0
	s_mul_i32 s0, s27, s0
	s_add_u32 s0, s21, s0
	s_addc_u32 s21, 0, s1
	s_add_u32 s25, s31, s0
	s_cselect_b64 s[0:1], -1, 0
	s_cmp_lg_u64 s[0:1], 0
	s_addc_u32 s21, s27, s21
	v_mad_u64_u32 v[17:18], s[0:1], v12, s21, 0
	v_mul_hi_u32 v20, v12, s25
	v_xor_b32_e32 v22, v19, v21
	v_add_co_u32_e32 v23, vcc, v20, v17
	v_addc_co_u32_e32 v24, vcc, 0, v18, vcc
	v_mad_u64_u32 v[17:18], s[0:1], v22, s25, 0
	v_mad_u64_u32 v[19:20], s[0:1], v22, s21, 0
	v_add_co_u32_e32 v17, vcc, v23, v17
	v_addc_co_u32_e32 v17, vcc, v24, v18, vcc
	v_addc_co_u32_e32 v18, vcc, 0, v20, vcc
	v_add_co_u32_e32 v19, vcc, v17, v19
	v_addc_co_u32_e32 v20, vcc, 0, v18, vcc
	v_mul_lo_u32 v23, s23, v19
	v_mul_lo_u32 v24, s22, v20
	v_mad_u64_u32 v[17:18], s[0:1], s22, v19, 0
	v_add3_u32 v18, v18, v24, v23
	v_sub_u32_e32 v23, v22, v18
	v_mov_b32_e32 v24, s23
	v_sub_co_u32_e32 v12, vcc, v12, v17
	v_subb_co_u32_e64 v17, s[0:1], v23, v24, vcc
	v_subrev_co_u32_e64 v23, s[0:1], s22, v12
	v_subbrev_co_u32_e64 v17, s[0:1], 0, v17, s[0:1]
	v_cmp_le_u32_e64 s[0:1], s23, v17
	v_cndmask_b32_e64 v24, 0, -1, s[0:1]
	v_cmp_le_u32_e64 s[0:1], s22, v23
	v_cndmask_b32_e64 v23, 0, -1, s[0:1]
	v_cmp_eq_u32_e64 s[0:1], s23, v17
	v_cndmask_b32_e64 v17, v24, v23, s[0:1]
	v_add_co_u32_e64 v23, s[0:1], 2, v19
	v_subb_co_u32_e32 v18, vcc, v22, v18, vcc
	v_addc_co_u32_e64 v24, s[0:1], 0, v20, s[0:1]
	v_cmp_le_u32_e32 vcc, s23, v18
	v_add_co_u32_e64 v25, s[0:1], 1, v19
	v_cndmask_b32_e64 v22, 0, -1, vcc
	v_cmp_le_u32_e32 vcc, s22, v12
	v_addc_co_u32_e64 v26, s[0:1], 0, v20, s[0:1]
	v_cndmask_b32_e64 v12, 0, -1, vcc
	v_cmp_eq_u32_e32 vcc, s23, v18
	v_cmp_ne_u32_e64 s[0:1], 0, v17
	v_cndmask_b32_e32 v12, v22, v12, vcc
	v_cndmask_b32_e64 v17, v26, v24, s[0:1]
	v_cmp_ne_u32_e32 vcc, 0, v12
	v_cndmask_b32_e32 v12, v20, v17, vcc
	v_cndmask_b32_e64 v17, v25, v23, s[0:1]
	v_cndmask_b32_e32 v17, v19, v17, vcc
	v_xor_b32_e32 v18, s20, v21
	v_xor_b32_e32 v17, v17, v18
	;; [unrolled: 1-line block ×3, first 2 shown]
	v_sub_co_u32_e32 v17, vcc, v17, v18
	v_subb_co_u32_e32 v18, vcc, v12, v18, vcc
                                        ; implicit-def: $vgpr20
                                        ; implicit-def: $vgpr12
.LBB0_33:
	s_or_saveexec_b64 s[0:1], s[2:3]
	s_load_dwordx2 s[20:21], s[4:5], 0x0
	s_xor_b64 exec, exec, s[0:1]
	s_cbranch_execz .LBB0_35
; %bb.34:
	v_rcp_iflag_f32_e32 v17, v20
	s_sub_i32 s2, 0, s28
	v_mul_f32_e32 v17, 0x4f7ffffe, v17
	v_cvt_u32_f32_e32 v17, v17
	v_mul_lo_u32 v18, s2, v17
	v_mul_hi_u32 v18, v17, v18
	v_add_u32_e32 v17, v17, v18
	v_mul_hi_u32 v17, v12, v17
	v_mul_lo_u32 v18, v17, s28
	v_add_u32_e32 v19, 1, v17
	v_sub_u32_e32 v12, v12, v18
	v_subrev_u32_e32 v18, s28, v12
	v_cmp_le_u32_e32 vcc, s28, v12
	v_cndmask_b32_e32 v12, v12, v18, vcc
	v_cndmask_b32_e32 v17, v17, v19, vcc
	v_add_u32_e32 v18, 1, v17
	v_cmp_le_u32_e32 vcc, s28, v12
	v_cndmask_b32_e32 v17, v17, v18, vcc
	v_mov_b32_e32 v18, 0
.LBB0_35:
	s_or_b64 exec, exec, s[0:1]
	v_cmp_lt_i64_e32 vcc, 0, v[15:16]
	v_mov_b32_e32 v12, s19
	v_cndmask_b32_e32 v16, 0, v16, vcc
	v_cndmask_b32_e32 v15, 0, v15, vcc
	v_cmp_lt_i64_e32 vcc, s[18:19], v[13:14]
	v_mad_u64_u32 v[19:20], s[2:3], v4, s36, 0
	v_cndmask_b32_e32 v14, v14, v12, vcc
	v_mov_b32_e32 v12, s18
	v_cndmask_b32_e32 v13, v13, v12, vcc
	v_cmp_lt_i64_e32 vcc, 0, v[9:10]
	v_mov_b32_e32 v12, s17
	v_cndmask_b32_e32 v10, 0, v10, vcc
	v_cndmask_b32_e32 v9, 0, v9, vcc
	v_cmp_lt_i64_e32 vcc, s[16:17], v[17:18]
	s_mul_i32 s2, s36, s19
	s_mul_hi_u32 s3, s36, s18
	v_cndmask_b32_e32 v18, v18, v12, vcc
	v_mov_b32_e32 v12, s16
	s_add_i32 s2, s3, s2
	s_mul_i32 s3, s37, s18
	v_cndmask_b32_e32 v17, v17, v12, vcc
	v_mul_lo_u32 v12, v5, s36
	v_mul_lo_u32 v23, v4, s37
	s_add_i32 s2, s2, s3
	s_mul_i32 s4, s36, s18
	v_mul_lo_u32 v24, s2, v2
	v_mad_u64_u32 v[21:22], s[2:3], s4, v2, v[9:10]
	v_mul_lo_u32 v25, s4, v3
	v_add3_u32 v20, v20, v23, v12
	v_mad_u64_u32 v[11:12], s[2:3], s28, v15, v[11:12]
	v_add3_u32 v12, v24, v22, v25
	v_mul_lo_u32 v23, s16, v12
	v_mul_lo_u32 v24, s17, v21
	v_mad_u64_u32 v[21:22], s[2:3], s16, v21, 0
	v_subrev_co_u32_e64 v8, s[0:1], s26, v8
	v_add3_u32 v22, v22, v23, v24
	v_lshlrev_b64 v[21:22], 1, v[21:22]
	v_lshlrev_b64 v[23:24], 1, v[15:16]
	v_cmp_lt_i64_e32 vcc, v[9:10], v[13:14]
	v_add_co_u32_e64 v21, s[2:3], v21, v23
	v_addc_co_u32_e64 v22, s[2:3], v22, v24, s[2:3]
	s_waitcnt lgkmcnt(0)
	v_mov_b32_e32 v23, s7
	v_add_co_u32_e64 v21, s[2:3], s6, v21
	v_addc_co_u32_e64 v22, s[2:3], v23, v22, s[2:3]
	s_mul_i32 s2, s18, s17
	s_mul_hi_u32 s3, s18, s16
	s_add_i32 s2, s3, s2
	s_mul_i32 s3, s19, s16
	v_cmp_lt_i64_e64 s[0:1], v[15:16], v[17:18]
	v_subrev_u32_e32 v12, s24, v11
	v_mov_b32_e32 v11, 0
	s_add_i32 s3, s2, s3
	s_mul_i32 s2, s18, s16
	s_mov_b64 s[22:23], 0
	s_mov_b32 s31, s28
	s_lshl_b64 s[18:19], s[2:3], 1
	s_lshl_b64 s[16:17], s[16:17], 1
	v_mov_b32_e32 v35, v11
	s_branch .LBB0_38
.LBB0_36:                               ;   in Loop: Header=BB0_38 Depth=1
	s_or_b64 exec, exec, s[26:27]
.LBB0_37:                               ;   in Loop: Header=BB0_38 Depth=1
	s_or_b64 exec, exec, s[24:25]
	s_add_u32 s22, s22, 1
	s_addc_u32 s23, s23, 0
	v_mov_b32_e32 v23, s19
	v_add_co_u32_e64 v21, s[2:3], s18, v21
	s_cmp_eq_u64 s[22:23], s[36:37]
	v_addc_co_u32_e64 v22, s[2:3], v22, v23, s[2:3]
	s_cbranch_scc1 .LBB0_49
.LBB0_38:                               ; =>This Loop Header: Depth=1
                                        ;     Child Loop BB0_41 Depth 2
                                        ;       Child Loop BB0_43 Depth 3
	s_and_saveexec_b64 s[24:25], vcc
	s_cbranch_execz .LBB0_37
; %bb.39:                               ;   in Loop: Header=BB0_38 Depth=1
	v_mov_b32_e32 v23, s23
	v_add_co_u32_e64 v24, s[2:3], s22, v19
	v_addc_co_u32_e64 v23, s[2:3], v23, v20, s[2:3]
	v_mul_lo_u32 v25, v23, s10
	v_mul_lo_u32 v26, v24, s11
	v_mad_u64_u32 v[23:24], s[2:3], v24, s10, 0
	v_mov_b32_e32 v28, v10
	s_mov_b64 s[26:27], 0
	v_add3_u32 v24, v24, v26, v25
	v_mov_b32_e32 v26, v22
	v_mov_b32_e32 v25, v21
	;; [unrolled: 1-line block ×3, first 2 shown]
	s_branch .LBB0_41
.LBB0_40:                               ;   in Loop: Header=BB0_41 Depth=2
	s_or_b64 exec, exec, s[28:29]
	v_add_co_u32_e64 v27, s[2:3], 1, v27
	v_addc_co_u32_e64 v28, s[2:3], 0, v28, s[2:3]
	v_cmp_ge_i64_e64 s[2:3], v[27:28], v[13:14]
	v_mov_b32_e32 v29, s17
	s_or_b64 s[26:27], s[2:3], s[26:27]
	v_add_co_u32_e64 v25, s[2:3], s16, v25
	v_addc_co_u32_e64 v26, s[2:3], v26, v29, s[2:3]
	s_andn2_b64 exec, exec, s[26:27]
	s_cbranch_execz .LBB0_36
.LBB0_41:                               ;   Parent Loop BB0_38 Depth=1
                                        ; =>  This Loop Header: Depth=2
                                        ;       Child Loop BB0_43 Depth 3
	s_and_saveexec_b64 s[28:29], s[0:1]
	s_cbranch_execz .LBB0_40
; %bb.42:                               ;   in Loop: Header=BB0_41 Depth=2
	v_mad_u64_u32 v[29:30], s[2:3], v27, s30, v[8:9]
	v_mov_b32_e32 v34, v16
	s_mov_b64 s[40:41], 0
	v_ashrrev_i32_e32 v30, 31, v29
	v_add_co_u32_e64 v29, s[2:3], v29, v23
	v_addc_co_u32_e64 v30, s[2:3], v30, v24, s[2:3]
	v_mul_lo_u32 v31, v30, s8
	v_mul_lo_u32 v32, v29, s9
	v_mad_u64_u32 v[29:30], s[2:3], v29, s8, 0
	v_mov_b32_e32 v33, v15
	v_add3_u32 v30, v30, v32, v31
	v_lshlrev_b64 v[29:30], 2, v[29:30]
	v_mov_b32_e32 v31, s21
	v_add_co_u32_e64 v36, s[2:3], s20, v29
	v_addc_co_u32_e64 v37, s[2:3], v31, v30, s[2:3]
	v_mov_b32_e32 v30, v26
	v_mov_b32_e32 v32, v12
	v_mov_b32_e32 v29, v25
	v_mov_b32_e32 v31, v11
.LBB0_43:                               ;   Parent Loop BB0_38 Depth=1
                                        ;     Parent Loop BB0_41 Depth=2
                                        ; =>    This Inner Loop Header: Depth=3
	v_ashrrev_i64 v[38:39], 30, v[31:32]
	global_load_ushort v40, v[29:30], off
	v_add_co_u32_e64 v38, s[2:3], v36, v38
	v_addc_co_u32_e64 v39, s[2:3], v37, v39, s[2:3]
	global_load_dword v38, v[38:39], off
	v_add_co_u32_e64 v33, s[2:3], 1, v33
	v_add_co_u32_e64 v29, s[6:7], 2, v29
	v_addc_co_u32_e64 v34, s[2:3], 0, v34, s[2:3]
	v_addc_co_u32_e64 v30, s[2:3], 0, v30, s[6:7]
	v_cmp_ge_i64_e64 s[2:3], v[33:34], v[17:18]
	v_mov_b32_e32 v39, s31
	v_add_co_u32_e64 v31, s[4:5], 0, v31
	v_addc_co_u32_e64 v32, s[4:5], v32, v39, s[4:5]
	s_or_b64 s[40:41], s[2:3], s[40:41]
	s_waitcnt vmcnt(0)
	v_fma_mix_f32 v35, v38, v40, v35 op_sel_hi:[0,1,0]
	s_andn2_b64 exec, exec, s[40:41]
	s_cbranch_execnz .LBB0_43
; %bb.44:                               ;   in Loop: Header=BB0_41 Depth=2
	s_or_b64 exec, exec, s[40:41]
	s_branch .LBB0_40
.LBB0_45:
                                        ; implicit-def: $vgpr7_vgpr8
	s_branch .LBB0_3
.LBB0_46:
                                        ; implicit-def: $vgpr4_vgpr5
	s_branch .LBB0_10
.LBB0_47:
                                        ; implicit-def: $vgpr4_vgpr5
	s_branch .LBB0_17
.LBB0_48:
	v_mov_b32_e32 v35, 0
.LBB0_49:
	v_mad_u64_u32 v[2:3], s[0:1], v4, s38, v[2:3]
	v_mul_lo_u32 v4, v4, s39
	v_mul_lo_u32 v5, v5, s38
	v_mad_u64_u32 v[0:1], s[0:1], v2, s14, v[0:1]
	v_add3_u32 v3, v5, v3, v4
	v_mul_lo_u32 v4, v2, s15
	v_mul_lo_u32 v2, v3, s14
	;; [unrolled: 1-line block ×3, first 2 shown]
	v_add3_u32 v2, v2, v1, v4
	v_mad_u64_u32 v[0:1], s[0:1], v0, s12, 0
	v_mul_lo_u32 v2, v2, s12
	v_add3_u32 v1, v1, v3, v2
	v_lshlrev_b64 v[0:1], 2, v[0:1]
	s_waitcnt lgkmcnt(0)
	v_mov_b32_e32 v2, s35
	v_add_co_u32_e32 v3, vcc, s34, v0
	v_addc_co_u32_e32 v2, vcc, v2, v1, vcc
	v_lshlrev_b64 v[0:1], 2, v[6:7]
	v_add_co_u32_e32 v0, vcc, v3, v0
	v_addc_co_u32_e32 v1, vcc, v2, v1, vcc
	global_store_dword v[0:1], v35, off
.LBB0_50:
	s_endpgm
	.section	.rodata,"a",@progbits
	.p2align	6, 0x0
	.amdhsa_kernel _ZL13conv2d_kernelI6__half11whcn_layoutEvPKfPKT_Pf11conv_params
		.amdhsa_group_segment_fixed_size 0
		.amdhsa_private_segment_fixed_size 0
		.amdhsa_kernarg_size 408
		.amdhsa_user_sgpr_count 6
		.amdhsa_user_sgpr_private_segment_buffer 1
		.amdhsa_user_sgpr_dispatch_ptr 0
		.amdhsa_user_sgpr_queue_ptr 0
		.amdhsa_user_sgpr_kernarg_segment_ptr 1
		.amdhsa_user_sgpr_dispatch_id 0
		.amdhsa_user_sgpr_flat_scratch_init 0
		.amdhsa_user_sgpr_private_segment_size 0
		.amdhsa_uses_dynamic_stack 0
		.amdhsa_system_sgpr_private_segment_wavefront_offset 0
		.amdhsa_system_sgpr_workgroup_id_x 1
		.amdhsa_system_sgpr_workgroup_id_y 0
		.amdhsa_system_sgpr_workgroup_id_z 0
		.amdhsa_system_sgpr_workgroup_info 0
		.amdhsa_system_vgpr_workitem_id 0
		.amdhsa_next_free_vgpr 41
		.amdhsa_next_free_sgpr 47
		.amdhsa_reserve_vcc 1
		.amdhsa_reserve_flat_scratch 0
		.amdhsa_float_round_mode_32 0
		.amdhsa_float_round_mode_16_64 0
		.amdhsa_float_denorm_mode_32 3
		.amdhsa_float_denorm_mode_16_64 3
		.amdhsa_dx10_clamp 1
		.amdhsa_ieee_mode 1
		.amdhsa_fp16_overflow 0
		.amdhsa_exception_fp_ieee_invalid_op 0
		.amdhsa_exception_fp_denorm_src 0
		.amdhsa_exception_fp_ieee_div_zero 0
		.amdhsa_exception_fp_ieee_overflow 0
		.amdhsa_exception_fp_ieee_underflow 0
		.amdhsa_exception_fp_ieee_inexact 0
		.amdhsa_exception_int_div_zero 0
	.end_amdhsa_kernel
	.section	.text._ZL13conv2d_kernelI6__half11whcn_layoutEvPKfPKT_Pf11conv_params,"axG",@progbits,_ZL13conv2d_kernelI6__half11whcn_layoutEvPKfPKT_Pf11conv_params,comdat
.Lfunc_end0:
	.size	_ZL13conv2d_kernelI6__half11whcn_layoutEvPKfPKT_Pf11conv_params, .Lfunc_end0-_ZL13conv2d_kernelI6__half11whcn_layoutEvPKfPKT_Pf11conv_params
                                        ; -- End function
	.set _ZL13conv2d_kernelI6__half11whcn_layoutEvPKfPKT_Pf11conv_params.num_vgpr, 41
	.set _ZL13conv2d_kernelI6__half11whcn_layoutEvPKfPKT_Pf11conv_params.num_agpr, 0
	.set _ZL13conv2d_kernelI6__half11whcn_layoutEvPKfPKT_Pf11conv_params.numbered_sgpr, 47
	.set _ZL13conv2d_kernelI6__half11whcn_layoutEvPKfPKT_Pf11conv_params.num_named_barrier, 0
	.set _ZL13conv2d_kernelI6__half11whcn_layoutEvPKfPKT_Pf11conv_params.private_seg_size, 0
	.set _ZL13conv2d_kernelI6__half11whcn_layoutEvPKfPKT_Pf11conv_params.uses_vcc, 1
	.set _ZL13conv2d_kernelI6__half11whcn_layoutEvPKfPKT_Pf11conv_params.uses_flat_scratch, 0
	.set _ZL13conv2d_kernelI6__half11whcn_layoutEvPKfPKT_Pf11conv_params.has_dyn_sized_stack, 0
	.set _ZL13conv2d_kernelI6__half11whcn_layoutEvPKfPKT_Pf11conv_params.has_recursion, 0
	.set _ZL13conv2d_kernelI6__half11whcn_layoutEvPKfPKT_Pf11conv_params.has_indirect_call, 0
	.section	.AMDGPU.csdata,"",@progbits
; Kernel info:
; codeLenInByte = 7916
; TotalNumSgprs: 51
; NumVgprs: 41
; ScratchSize: 0
; MemoryBound: 0
; FloatMode: 240
; IeeeMode: 1
; LDSByteSize: 0 bytes/workgroup (compile time only)
; SGPRBlocks: 6
; VGPRBlocks: 10
; NumSGPRsForWavesPerEU: 51
; NumVGPRsForWavesPerEU: 41
; Occupancy: 5
; WaveLimiterHint : 0
; COMPUTE_PGM_RSRC2:SCRATCH_EN: 0
; COMPUTE_PGM_RSRC2:USER_SGPR: 6
; COMPUTE_PGM_RSRC2:TRAP_HANDLER: 0
; COMPUTE_PGM_RSRC2:TGID_X_EN: 1
; COMPUTE_PGM_RSRC2:TGID_Y_EN: 0
; COMPUTE_PGM_RSRC2:TGID_Z_EN: 0
; COMPUTE_PGM_RSRC2:TIDIG_COMP_CNT: 0
	.section	.text._ZL13conv2d_kernelIf11whcn_layoutEvPKfPKT_Pf11conv_params,"axG",@progbits,_ZL13conv2d_kernelIf11whcn_layoutEvPKfPKT_Pf11conv_params,comdat
	.globl	_ZL13conv2d_kernelIf11whcn_layoutEvPKfPKT_Pf11conv_params ; -- Begin function _ZL13conv2d_kernelIf11whcn_layoutEvPKfPKT_Pf11conv_params
	.p2align	8
	.type	_ZL13conv2d_kernelIf11whcn_layoutEvPKfPKT_Pf11conv_params,@function
_ZL13conv2d_kernelIf11whcn_layoutEvPKfPKT_Pf11conv_params: ; @_ZL13conv2d_kernelIf11whcn_layoutEvPKfPKT_Pf11conv_params
; %bb.0:
	s_load_dword s2, s[4:5], 0xa4
	s_load_dwordx2 s[0:1], s[4:5], 0x90
	s_add_u32 s34, s4, 24
	s_addc_u32 s35, s5, 0
	v_mov_b32_e32 v7, 0
	s_waitcnt lgkmcnt(0)
	s_and_b32 s2, s2, 0xffff
	s_mul_i32 s6, s6, s2
	v_add_u32_e32 v6, s6, v0
	v_cmp_gt_i64_e32 vcc, s[0:1], v[6:7]
	s_and_saveexec_b64 s[0:1], vcc
	s_cbranch_execz .LBB1_50
; %bb.1:
	s_load_dwordx16 s[8:23], s[34:35], 0x0
	s_mov_b32 s0, 0
	s_waitcnt lgkmcnt(0)
	s_mov_b32 s1, s13
	s_cmp_lg_u64 s[0:1], 0
	s_cbranch_scc0 .LBB1_45
; %bb.2:
	s_ashr_i32 s2, s13, 31
	s_add_u32 s0, s12, s2
	s_mov_b32 s3, s2
	s_addc_u32 s1, s13, s2
	s_xor_b64 s[6:7], s[0:1], s[2:3]
	v_cvt_f32_u32_e32 v0, s6
	v_cvt_f32_u32_e32 v1, s7
	s_sub_u32 s3, 0, s6
	s_subb_u32 s24, 0, s7
	v_add_co_u32_e32 v4, vcc, 0, v6
	v_madmk_f32 v0, v1, 0x4f800000, v0
	v_rcp_f32_e32 v0, v0
	v_mul_f32_e32 v0, 0x5f7ffffc, v0
	v_mul_f32_e32 v1, 0x2f800000, v0
	v_trunc_f32_e32 v1, v1
	v_madmk_f32 v0, v1, 0xcf800000, v0
	v_cvt_u32_f32_e32 v1, v1
	v_cvt_u32_f32_e32 v0, v0
	v_readfirstlane_b32 s25, v1
	v_readfirstlane_b32 s0, v0
	s_mul_i32 s1, s3, s25
	s_mul_hi_u32 s27, s3, s0
	s_mul_i32 s26, s24, s0
	s_add_i32 s1, s27, s1
	s_add_i32 s1, s1, s26
	s_mul_i32 s28, s3, s0
	s_mul_i32 s27, s0, s1
	s_mul_hi_u32 s29, s0, s28
	s_mul_hi_u32 s26, s0, s1
	s_add_u32 s27, s29, s27
	s_addc_u32 s26, 0, s26
	s_mul_hi_u32 s30, s25, s28
	s_mul_i32 s28, s25, s28
	s_add_u32 s27, s27, s28
	s_mul_hi_u32 s29, s25, s1
	s_addc_u32 s26, s26, s30
	s_addc_u32 s27, s29, 0
	s_mul_i32 s1, s25, s1
	s_add_u32 s1, s26, s1
	s_addc_u32 s26, 0, s27
	s_add_u32 s27, s0, s1
	s_cselect_b64 s[0:1], -1, 0
	s_cmp_lg_u64 s[0:1], 0
	s_addc_u32 s25, s25, s26
	s_mul_i32 s0, s3, s25
	s_mul_hi_u32 s1, s3, s27
	s_add_i32 s0, s1, s0
	s_mul_i32 s24, s24, s27
	s_add_i32 s0, s0, s24
	s_mul_i32 s3, s3, s27
	s_mul_hi_u32 s24, s25, s3
	s_mul_i32 s26, s25, s3
	s_mul_i32 s29, s27, s0
	s_mul_hi_u32 s3, s27, s3
	s_mul_hi_u32 s28, s27, s0
	s_add_u32 s3, s3, s29
	s_addc_u32 s28, 0, s28
	s_add_u32 s3, s3, s26
	s_mul_hi_u32 s1, s25, s0
	s_addc_u32 s3, s28, s24
	s_addc_u32 s1, s1, 0
	s_mul_i32 s0, s25, s0
	s_add_u32 s0, s3, s0
	s_addc_u32 s3, 0, s1
	s_add_u32 s24, s27, s0
	s_cselect_b64 s[0:1], -1, 0
	s_cmp_lg_u64 s[0:1], 0
	s_addc_u32 s3, s25, s3
	v_mad_u64_u32 v[0:1], s[0:1], v4, s3, 0
	v_mul_hi_u32 v2, v4, s24
	v_addc_co_u32_e64 v5, s[0:1], 0, 0, vcc
	v_add_co_u32_e32 v7, vcc, v2, v0
	v_addc_co_u32_e32 v8, vcc, 0, v1, vcc
	v_mad_u64_u32 v[0:1], s[0:1], v5, s24, 0
	v_mad_u64_u32 v[2:3], s[0:1], v5, s3, 0
	v_add_co_u32_e32 v0, vcc, v7, v0
	v_addc_co_u32_e32 v0, vcc, v8, v1, vcc
	v_addc_co_u32_e32 v1, vcc, 0, v3, vcc
	v_add_co_u32_e32 v2, vcc, v0, v2
	v_addc_co_u32_e32 v3, vcc, 0, v1, vcc
	v_mul_lo_u32 v7, s7, v2
	v_mul_lo_u32 v8, s6, v3
	v_mad_u64_u32 v[0:1], s[0:1], s6, v2, 0
	v_add3_u32 v1, v1, v8, v7
	v_sub_u32_e32 v7, v5, v1
	v_mov_b32_e32 v8, s7
	v_sub_co_u32_e32 v0, vcc, v4, v0
	v_subb_co_u32_e64 v4, s[0:1], v7, v8, vcc
	v_subrev_co_u32_e64 v7, s[0:1], s6, v0
	v_subbrev_co_u32_e64 v4, s[0:1], 0, v4, s[0:1]
	v_cmp_le_u32_e64 s[0:1], s7, v4
	v_cndmask_b32_e64 v8, 0, -1, s[0:1]
	v_cmp_le_u32_e64 s[0:1], s6, v7
	v_cndmask_b32_e64 v7, 0, -1, s[0:1]
	v_cmp_eq_u32_e64 s[0:1], s7, v4
	v_cndmask_b32_e64 v4, v8, v7, s[0:1]
	v_add_co_u32_e64 v7, s[0:1], 2, v2
	v_subb_co_u32_e32 v1, vcc, v5, v1, vcc
	v_addc_co_u32_e64 v8, s[0:1], 0, v3, s[0:1]
	v_cmp_le_u32_e32 vcc, s7, v1
	v_add_co_u32_e64 v9, s[0:1], 1, v2
	v_cndmask_b32_e64 v5, 0, -1, vcc
	v_cmp_le_u32_e32 vcc, s6, v0
	v_addc_co_u32_e64 v10, s[0:1], 0, v3, s[0:1]
	v_cndmask_b32_e64 v0, 0, -1, vcc
	v_cmp_eq_u32_e32 vcc, s7, v1
	v_cmp_ne_u32_e64 s[0:1], 0, v4
	v_cndmask_b32_e32 v0, v5, v0, vcc
	v_cmp_ne_u32_e32 vcc, 0, v0
	v_cndmask_b32_e64 v1, v9, v7, s[0:1]
	v_cndmask_b32_e64 v4, v10, v8, s[0:1]
	v_cndmask_b32_e32 v1, v2, v1, vcc
	v_cndmask_b32_e32 v0, v3, v4, vcc
	v_xor_b32_e32 v1, s2, v1
	v_xor_b32_e32 v0, s2, v0
	v_mov_b32_e32 v2, s2
	v_subrev_co_u32_e32 v7, vcc, s2, v1
	v_subb_co_u32_e32 v8, vcc, v0, v2, vcc
	s_cbranch_execnz .LBB1_4
.LBB1_3:
	v_cvt_f32_u32_e32 v0, s12
	s_sub_i32 s0, 0, s12
	v_mov_b32_e32 v8, 0
	v_rcp_iflag_f32_e32 v0, v0
	v_mul_f32_e32 v0, 0x4f7ffffe, v0
	v_cvt_u32_f32_e32 v0, v0
	v_mul_lo_u32 v1, s0, v0
	v_mul_hi_u32 v1, v0, v1
	v_add_u32_e32 v0, v0, v1
	v_mul_hi_u32 v0, v6, v0
	v_mul_lo_u32 v1, v0, s12
	v_add_u32_e32 v2, 1, v0
	v_sub_u32_e32 v1, v6, v1
	v_subrev_u32_e32 v3, s12, v1
	v_cmp_le_u32_e32 vcc, s12, v1
	v_cndmask_b32_e32 v1, v1, v3, vcc
	v_cndmask_b32_e32 v0, v0, v2, vcc
	v_add_u32_e32 v2, 1, v0
	v_cmp_le_u32_e32 vcc, s12, v1
	v_cndmask_b32_e32 v7, v0, v2, vcc
.LBB1_4:
	v_or_b32_e32 v1, s15, v8
	v_mov_b32_e32 v0, 0
	v_cmp_ne_u64_e32 vcc, 0, v[0:1]
                                        ; implicit-def: $vgpr0_vgpr1
	s_and_saveexec_b64 s[0:1], vcc
	s_xor_b64 s[6:7], exec, s[0:1]
	s_cbranch_execz .LBB1_6
; %bb.5:
	s_ashr_i32 s0, s15, 31
	s_add_u32 s2, s14, s0
	s_mov_b32 s1, s0
	s_addc_u32 s3, s15, s0
	s_xor_b64 s[24:25], s[2:3], s[0:1]
	v_cvt_f32_u32_e32 v0, s24
	v_cvt_f32_u32_e32 v1, s25
	s_sub_u32 s2, 0, s24
	s_subb_u32 s3, 0, s25
	v_ashrrev_i32_e32 v4, 31, v8
	v_madmk_f32 v0, v1, 0x4f800000, v0
	v_rcp_f32_e32 v0, v0
	v_mul_f32_e32 v0, 0x5f7ffffc, v0
	v_mul_f32_e32 v1, 0x2f800000, v0
	v_trunc_f32_e32 v1, v1
	v_madmk_f32 v0, v1, 0xcf800000, v0
	v_cvt_u32_f32_e32 v1, v1
	v_cvt_u32_f32_e32 v0, v0
	v_readfirstlane_b32 s26, v1
	v_readfirstlane_b32 s0, v0
	s_mul_i32 s1, s2, s26
	s_mul_hi_u32 s28, s2, s0
	s_mul_i32 s27, s3, s0
	s_add_i32 s1, s28, s1
	s_add_i32 s1, s1, s27
	s_mul_i32 s29, s2, s0
	s_mul_i32 s28, s0, s1
	s_mul_hi_u32 s30, s0, s29
	s_mul_hi_u32 s27, s0, s1
	s_add_u32 s28, s30, s28
	s_addc_u32 s27, 0, s27
	s_mul_hi_u32 s31, s26, s29
	s_mul_i32 s29, s26, s29
	s_add_u32 s28, s28, s29
	s_mul_hi_u32 s30, s26, s1
	s_addc_u32 s27, s27, s31
	s_addc_u32 s28, s30, 0
	s_mul_i32 s1, s26, s1
	s_add_u32 s1, s27, s1
	s_addc_u32 s27, 0, s28
	s_add_u32 s28, s0, s1
	s_cselect_b64 s[0:1], -1, 0
	s_cmp_lg_u64 s[0:1], 0
	s_addc_u32 s26, s26, s27
	s_mul_i32 s0, s2, s26
	s_mul_hi_u32 s1, s2, s28
	s_add_i32 s0, s1, s0
	s_mul_i32 s3, s3, s28
	s_add_i32 s0, s0, s3
	s_mul_i32 s2, s2, s28
	s_mul_hi_u32 s3, s26, s2
	s_mul_i32 s27, s26, s2
	s_mul_i32 s30, s28, s0
	s_mul_hi_u32 s2, s28, s2
	s_mul_hi_u32 s29, s28, s0
	s_add_u32 s2, s2, s30
	s_addc_u32 s29, 0, s29
	s_add_u32 s2, s2, s27
	s_mul_hi_u32 s1, s26, s0
	s_addc_u32 s2, s29, s3
	s_addc_u32 s1, s1, 0
	s_mul_i32 s0, s26, s0
	s_add_u32 s0, s2, s0
	s_addc_u32 s2, 0, s1
	s_add_u32 s3, s28, s0
	s_cselect_b64 s[0:1], -1, 0
	s_cmp_lg_u64 s[0:1], 0
	v_add_co_u32_e32 v0, vcc, v7, v4
	s_addc_u32 s2, s26, s2
	v_xor_b32_e32 v5, v0, v4
	v_mad_u64_u32 v[0:1], s[0:1], v5, s2, 0
	v_mul_hi_u32 v3, v5, s3
	v_addc_co_u32_e32 v2, vcc, v8, v4, vcc
	v_xor_b32_e32 v9, v2, v4
	v_add_co_u32_e32 v10, vcc, v3, v0
	v_addc_co_u32_e32 v11, vcc, 0, v1, vcc
	v_mad_u64_u32 v[0:1], s[0:1], v9, s3, 0
	v_mad_u64_u32 v[2:3], s[0:1], v9, s2, 0
	v_add_co_u32_e32 v0, vcc, v10, v0
	v_addc_co_u32_e32 v0, vcc, v11, v1, vcc
	v_addc_co_u32_e32 v1, vcc, 0, v3, vcc
	v_add_co_u32_e32 v0, vcc, v0, v2
	v_addc_co_u32_e32 v1, vcc, 0, v1, vcc
	v_mul_lo_u32 v2, s25, v0
	v_mul_lo_u32 v3, s24, v1
	v_mad_u64_u32 v[0:1], s[0:1], s24, v0, 0
	v_add3_u32 v1, v1, v3, v2
	v_sub_u32_e32 v2, v9, v1
	v_mov_b32_e32 v3, s25
	v_sub_co_u32_e32 v0, vcc, v5, v0
	v_subb_co_u32_e64 v2, s[0:1], v2, v3, vcc
	v_subrev_co_u32_e64 v5, s[0:1], s24, v0
	v_subbrev_co_u32_e64 v10, s[2:3], 0, v2, s[0:1]
	v_cmp_le_u32_e64 s[2:3], s25, v10
	v_cndmask_b32_e64 v11, 0, -1, s[2:3]
	v_cmp_le_u32_e64 s[2:3], s24, v5
	v_subb_co_u32_e64 v2, s[0:1], v2, v3, s[0:1]
	v_cndmask_b32_e64 v12, 0, -1, s[2:3]
	v_cmp_eq_u32_e64 s[2:3], s25, v10
	v_subrev_co_u32_e64 v3, s[0:1], s24, v5
	v_subb_co_u32_e32 v1, vcc, v9, v1, vcc
	v_cndmask_b32_e64 v11, v11, v12, s[2:3]
	v_subbrev_co_u32_e64 v2, s[0:1], 0, v2, s[0:1]
	v_cmp_le_u32_e32 vcc, s25, v1
	v_cmp_ne_u32_e64 s[0:1], 0, v11
	v_cndmask_b32_e64 v9, 0, -1, vcc
	v_cmp_le_u32_e32 vcc, s24, v0
	v_cndmask_b32_e64 v2, v10, v2, s[0:1]
	v_cndmask_b32_e64 v10, 0, -1, vcc
	v_cmp_eq_u32_e32 vcc, s25, v1
	v_cndmask_b32_e32 v9, v9, v10, vcc
	v_cmp_ne_u32_e32 vcc, 0, v9
	v_cndmask_b32_e32 v1, v1, v2, vcc
	v_cndmask_b32_e64 v2, v5, v3, s[0:1]
	v_cndmask_b32_e32 v0, v0, v2, vcc
	v_xor_b32_e32 v0, v0, v4
	v_xor_b32_e32 v1, v1, v4
	v_sub_co_u32_e32 v0, vcc, v0, v4
	v_subb_co_u32_e32 v1, vcc, v1, v4, vcc
.LBB1_6:
	s_or_saveexec_b64 s[0:1], s[6:7]
	s_load_dwordx4 s[36:39], s[34:35], 0x60
	s_load_dwordx8 s[24:31], s[34:35], 0x40
	s_xor_b64 exec, exec, s[0:1]
	s_cbranch_execz .LBB1_8
; %bb.7:
	v_cvt_f32_u32_e32 v0, s14
	s_sub_i32 s2, 0, s14
	v_rcp_iflag_f32_e32 v0, v0
	v_mul_f32_e32 v0, 0x4f7ffffe, v0
	v_cvt_u32_f32_e32 v0, v0
	v_mul_lo_u32 v1, s2, v0
	v_mul_hi_u32 v1, v0, v1
	v_add_u32_e32 v0, v0, v1
	v_mul_hi_u32 v0, v7, v0
	v_mul_lo_u32 v0, v0, s14
	v_sub_u32_e32 v0, v7, v0
	v_subrev_u32_e32 v1, s14, v0
	v_cmp_le_u32_e32 vcc, s14, v0
	v_cndmask_b32_e32 v0, v0, v1, vcc
	v_subrev_u32_e32 v1, s14, v0
	v_cmp_le_u32_e32 vcc, s14, v0
	v_cndmask_b32_e32 v0, v0, v1, vcc
	v_mov_b32_e32 v1, 0
.LBB1_8:
	s_or_b64 exec, exec, s[0:1]
	s_mul_i32 s0, s14, s13
	s_mul_hi_u32 s1, s14, s12
	s_add_i32 s0, s1, s0
	s_mul_i32 s1, s15, s12
	s_add_i32 s7, s0, s1
	s_mov_b32 s6, 0
	s_cmp_lg_u64 s[6:7], 0
	s_mul_i32 s6, s14, s12
	s_cbranch_scc0 .LBB1_46
; %bb.9:
	s_ashr_i32 s2, s7, 31
	s_add_u32 s0, s6, s2
	s_mov_b32 s3, s2
	s_addc_u32 s1, s7, s2
	s_xor_b64 s[34:35], s[0:1], s[2:3]
	v_cvt_f32_u32_e32 v2, s34
	v_cvt_f32_u32_e32 v3, s35
	s_sub_u32 s3, 0, s34
	s_subb_u32 s33, 0, s35
	v_add_co_u32_e32 v9, vcc, 0, v6
	v_madmk_f32 v2, v3, 0x4f800000, v2
	v_rcp_f32_e32 v2, v2
	v_mul_f32_e32 v2, 0x5f7ffffc, v2
	v_mul_f32_e32 v3, 0x2f800000, v2
	v_trunc_f32_e32 v3, v3
	v_madmk_f32 v2, v3, 0xcf800000, v2
	v_cvt_u32_f32_e32 v3, v3
	v_cvt_u32_f32_e32 v2, v2
	v_readfirstlane_b32 s40, v3
	v_readfirstlane_b32 s0, v2
	s_mul_i32 s1, s3, s40
	s_mul_hi_u32 s42, s3, s0
	s_mul_i32 s41, s33, s0
	s_add_i32 s1, s42, s1
	s_add_i32 s1, s1, s41
	s_mul_i32 s43, s3, s0
	s_mul_i32 s42, s0, s1
	s_mul_hi_u32 s44, s0, s43
	s_mul_hi_u32 s41, s0, s1
	s_add_u32 s42, s44, s42
	s_addc_u32 s41, 0, s41
	s_mul_hi_u32 s45, s40, s43
	s_mul_i32 s43, s40, s43
	s_add_u32 s42, s42, s43
	s_mul_hi_u32 s44, s40, s1
	s_addc_u32 s41, s41, s45
	s_addc_u32 s42, s44, 0
	s_mul_i32 s1, s40, s1
	s_add_u32 s1, s41, s1
	s_addc_u32 s41, 0, s42
	s_add_u32 s42, s0, s1
	s_cselect_b64 s[0:1], -1, 0
	s_cmp_lg_u64 s[0:1], 0
	s_addc_u32 s40, s40, s41
	s_mul_i32 s0, s3, s40
	s_mul_hi_u32 s1, s3, s42
	s_add_i32 s0, s1, s0
	s_mul_i32 s33, s33, s42
	s_add_i32 s0, s0, s33
	s_mul_i32 s3, s3, s42
	s_mul_hi_u32 s33, s40, s3
	s_mul_i32 s41, s40, s3
	s_mul_i32 s44, s42, s0
	s_mul_hi_u32 s3, s42, s3
	s_mul_hi_u32 s43, s42, s0
	s_add_u32 s3, s3, s44
	s_addc_u32 s43, 0, s43
	s_add_u32 s3, s3, s41
	s_mul_hi_u32 s1, s40, s0
	s_addc_u32 s3, s43, s33
	s_addc_u32 s1, s1, 0
	s_mul_i32 s0, s40, s0
	s_add_u32 s0, s3, s0
	s_addc_u32 s3, 0, s1
	s_add_u32 s33, s42, s0
	s_cselect_b64 s[0:1], -1, 0
	s_cmp_lg_u64 s[0:1], 0
	s_addc_u32 s3, s40, s3
	v_mad_u64_u32 v[2:3], s[0:1], v9, s3, 0
	v_mul_hi_u32 v4, v9, s33
	v_addc_co_u32_e64 v10, s[0:1], 0, 0, vcc
	v_add_co_u32_e32 v11, vcc, v4, v2
	v_addc_co_u32_e32 v12, vcc, 0, v3, vcc
	v_mad_u64_u32 v[2:3], s[0:1], v10, s33, 0
	v_mad_u64_u32 v[4:5], s[0:1], v10, s3, 0
	v_add_co_u32_e32 v2, vcc, v11, v2
	v_addc_co_u32_e32 v2, vcc, v12, v3, vcc
	v_addc_co_u32_e32 v3, vcc, 0, v5, vcc
	v_add_co_u32_e32 v4, vcc, v2, v4
	v_addc_co_u32_e32 v5, vcc, 0, v3, vcc
	v_mul_lo_u32 v11, s35, v4
	v_mul_lo_u32 v12, s34, v5
	v_mad_u64_u32 v[2:3], s[0:1], s34, v4, 0
	v_add3_u32 v3, v3, v12, v11
	v_sub_u32_e32 v11, v10, v3
	v_mov_b32_e32 v12, s35
	v_sub_co_u32_e32 v2, vcc, v9, v2
	v_subb_co_u32_e64 v9, s[0:1], v11, v12, vcc
	v_subrev_co_u32_e64 v11, s[0:1], s34, v2
	v_subbrev_co_u32_e64 v9, s[0:1], 0, v9, s[0:1]
	v_cmp_le_u32_e64 s[0:1], s35, v9
	v_cndmask_b32_e64 v12, 0, -1, s[0:1]
	v_cmp_le_u32_e64 s[0:1], s34, v11
	v_cndmask_b32_e64 v11, 0, -1, s[0:1]
	v_cmp_eq_u32_e64 s[0:1], s35, v9
	v_cndmask_b32_e64 v9, v12, v11, s[0:1]
	v_add_co_u32_e64 v11, s[0:1], 2, v4
	v_subb_co_u32_e32 v3, vcc, v10, v3, vcc
	v_addc_co_u32_e64 v12, s[0:1], 0, v5, s[0:1]
	v_cmp_le_u32_e32 vcc, s35, v3
	v_add_co_u32_e64 v13, s[0:1], 1, v4
	v_cndmask_b32_e64 v10, 0, -1, vcc
	v_cmp_le_u32_e32 vcc, s34, v2
	v_addc_co_u32_e64 v14, s[0:1], 0, v5, s[0:1]
	v_cndmask_b32_e64 v2, 0, -1, vcc
	v_cmp_eq_u32_e32 vcc, s35, v3
	v_cmp_ne_u32_e64 s[0:1], 0, v9
	v_cndmask_b32_e32 v2, v10, v2, vcc
	v_cmp_ne_u32_e32 vcc, 0, v2
	v_cndmask_b32_e64 v3, v13, v11, s[0:1]
	v_cndmask_b32_e64 v9, v14, v12, s[0:1]
	v_cndmask_b32_e32 v3, v4, v3, vcc
	v_cndmask_b32_e32 v2, v5, v9, vcc
	v_xor_b32_e32 v3, s2, v3
	v_xor_b32_e32 v2, s2, v2
	v_mov_b32_e32 v5, s2
	v_subrev_co_u32_e32 v4, vcc, s2, v3
	v_subb_co_u32_e32 v5, vcc, v2, v5, vcc
	s_cbranch_execnz .LBB1_11
.LBB1_10:
	v_cvt_f32_u32_e32 v2, s6
	s_sub_i32 s0, 0, s6
	v_rcp_iflag_f32_e32 v2, v2
	v_mul_f32_e32 v2, 0x4f7ffffe, v2
	v_cvt_u32_f32_e32 v2, v2
	v_mul_lo_u32 v3, s0, v2
	v_mul_hi_u32 v3, v2, v3
	v_add_u32_e32 v2, v2, v3
	v_mul_hi_u32 v2, v6, v2
	v_mul_lo_u32 v3, v2, s6
	v_add_u32_e32 v4, 1, v2
	v_sub_u32_e32 v3, v6, v3
	v_subrev_u32_e32 v5, s6, v3
	v_cmp_le_u32_e32 vcc, s6, v3
	v_cndmask_b32_e32 v3, v3, v5, vcc
	v_cndmask_b32_e32 v2, v2, v4, vcc
	v_add_u32_e32 v4, 1, v2
	v_cmp_le_u32_e32 vcc, s6, v3
	v_cndmask_b32_e32 v4, v2, v4, vcc
	v_mov_b32_e32 v5, 0
.LBB1_11:
	s_waitcnt lgkmcnt(0)
	v_or_b32_e32 v3, s39, v5
	v_mov_b32_e32 v2, 0
	v_cmp_ne_u64_e32 vcc, 0, v[2:3]
                                        ; implicit-def: $vgpr2_vgpr3
	s_and_saveexec_b64 s[0:1], vcc
	s_xor_b64 s[34:35], exec, s[0:1]
	s_cbranch_execz .LBB1_13
; %bb.12:
	s_ashr_i32 s0, s39, 31
	s_add_u32 s2, s38, s0
	s_mov_b32 s1, s0
	s_addc_u32 s3, s39, s0
	s_xor_b64 s[40:41], s[2:3], s[0:1]
	v_cvt_f32_u32_e32 v2, s40
	v_cvt_f32_u32_e32 v3, s41
	s_sub_u32 s2, 0, s40
	s_subb_u32 s3, 0, s41
	v_ashrrev_i32_e32 v9, 31, v5
	v_madmk_f32 v2, v3, 0x4f800000, v2
	v_rcp_f32_e32 v2, v2
	v_mul_f32_e32 v2, 0x5f7ffffc, v2
	v_mul_f32_e32 v3, 0x2f800000, v2
	v_trunc_f32_e32 v3, v3
	v_madmk_f32 v2, v3, 0xcf800000, v2
	v_cvt_u32_f32_e32 v3, v3
	v_cvt_u32_f32_e32 v2, v2
	v_readfirstlane_b32 s33, v3
	v_readfirstlane_b32 s0, v2
	s_mul_i32 s1, s2, s33
	s_mul_hi_u32 s43, s2, s0
	s_mul_i32 s42, s3, s0
	s_add_i32 s1, s43, s1
	s_add_i32 s1, s1, s42
	s_mul_i32 s44, s2, s0
	s_mul_i32 s43, s0, s1
	s_mul_hi_u32 s45, s0, s44
	s_mul_hi_u32 s42, s0, s1
	s_add_u32 s43, s45, s43
	s_addc_u32 s42, 0, s42
	s_mul_hi_u32 s46, s33, s44
	s_mul_i32 s44, s33, s44
	s_add_u32 s43, s43, s44
	s_mul_hi_u32 s45, s33, s1
	s_addc_u32 s42, s42, s46
	s_addc_u32 s43, s45, 0
	s_mul_i32 s1, s33, s1
	s_add_u32 s1, s42, s1
	s_addc_u32 s42, 0, s43
	s_add_u32 s43, s0, s1
	s_cselect_b64 s[0:1], -1, 0
	s_cmp_lg_u64 s[0:1], 0
	s_addc_u32 s33, s33, s42
	s_mul_i32 s0, s2, s33
	s_mul_hi_u32 s1, s2, s43
	s_add_i32 s0, s1, s0
	s_mul_i32 s3, s3, s43
	s_add_i32 s0, s0, s3
	s_mul_i32 s2, s2, s43
	s_mul_hi_u32 s3, s33, s2
	s_mul_i32 s42, s33, s2
	s_mul_i32 s45, s43, s0
	s_mul_hi_u32 s2, s43, s2
	s_mul_hi_u32 s44, s43, s0
	s_add_u32 s2, s2, s45
	s_addc_u32 s44, 0, s44
	s_add_u32 s2, s2, s42
	s_mul_hi_u32 s1, s33, s0
	s_addc_u32 s2, s44, s3
	s_addc_u32 s1, s1, 0
	s_mul_i32 s0, s33, s0
	s_add_u32 s0, s2, s0
	s_addc_u32 s2, 0, s1
	s_add_u32 s3, s43, s0
	s_cselect_b64 s[0:1], -1, 0
	s_cmp_lg_u64 s[0:1], 0
	v_add_co_u32_e32 v2, vcc, v4, v9
	s_addc_u32 s2, s33, s2
	v_xor_b32_e32 v10, v2, v9
	v_addc_co_u32_e32 v4, vcc, v5, v9, vcc
	v_mad_u64_u32 v[2:3], s[0:1], v10, s2, 0
	v_mul_hi_u32 v5, v10, s3
	v_xor_b32_e32 v11, v4, v9
	v_add_co_u32_e32 v12, vcc, v5, v2
	v_addc_co_u32_e32 v13, vcc, 0, v3, vcc
	v_mad_u64_u32 v[2:3], s[0:1], v11, s3, 0
	v_mad_u64_u32 v[4:5], s[0:1], v11, s2, 0
	v_add_co_u32_e32 v2, vcc, v12, v2
	v_addc_co_u32_e32 v2, vcc, v13, v3, vcc
	v_addc_co_u32_e32 v3, vcc, 0, v5, vcc
	v_add_co_u32_e32 v2, vcc, v2, v4
	v_addc_co_u32_e32 v3, vcc, 0, v3, vcc
	v_mul_lo_u32 v4, s41, v2
	v_mul_lo_u32 v5, s40, v3
	v_mad_u64_u32 v[2:3], s[0:1], s40, v2, 0
	v_add3_u32 v3, v3, v5, v4
	v_sub_u32_e32 v4, v11, v3
	v_mov_b32_e32 v5, s41
	v_sub_co_u32_e32 v2, vcc, v10, v2
	v_subb_co_u32_e64 v4, s[0:1], v4, v5, vcc
	v_subrev_co_u32_e64 v10, s[0:1], s40, v2
	v_subbrev_co_u32_e64 v12, s[2:3], 0, v4, s[0:1]
	v_cmp_le_u32_e64 s[2:3], s41, v12
	v_cndmask_b32_e64 v13, 0, -1, s[2:3]
	v_cmp_le_u32_e64 s[2:3], s40, v10
	v_subb_co_u32_e64 v4, s[0:1], v4, v5, s[0:1]
	v_cndmask_b32_e64 v14, 0, -1, s[2:3]
	v_cmp_eq_u32_e64 s[2:3], s41, v12
	v_subrev_co_u32_e64 v5, s[0:1], s40, v10
	v_subb_co_u32_e32 v3, vcc, v11, v3, vcc
	v_cndmask_b32_e64 v13, v13, v14, s[2:3]
	v_subbrev_co_u32_e64 v4, s[0:1], 0, v4, s[0:1]
	v_cmp_le_u32_e32 vcc, s41, v3
	v_cmp_ne_u32_e64 s[0:1], 0, v13
	v_cndmask_b32_e64 v11, 0, -1, vcc
	v_cmp_le_u32_e32 vcc, s40, v2
	v_cndmask_b32_e64 v4, v12, v4, s[0:1]
	v_cndmask_b32_e64 v12, 0, -1, vcc
	v_cmp_eq_u32_e32 vcc, s41, v3
	v_cndmask_b32_e32 v11, v11, v12, vcc
	v_cmp_ne_u32_e32 vcc, 0, v11
	v_cndmask_b32_e32 v3, v3, v4, vcc
	v_cndmask_b32_e64 v4, v10, v5, s[0:1]
	v_cndmask_b32_e32 v2, v2, v4, vcc
	v_xor_b32_e32 v2, v2, v9
	v_xor_b32_e32 v3, v3, v9
	v_sub_co_u32_e32 v2, vcc, v2, v9
	v_subb_co_u32_e32 v3, vcc, v3, v9, vcc
                                        ; implicit-def: $vgpr4_vgpr5
.LBB1_13:
	s_andn2_saveexec_b64 s[0:1], s[34:35]
	s_cbranch_execz .LBB1_15
; %bb.14:
	v_cvt_f32_u32_e32 v2, s38
	s_sub_i32 s2, 0, s38
	v_rcp_iflag_f32_e32 v2, v2
	v_mul_f32_e32 v2, 0x4f7ffffe, v2
	v_cvt_u32_f32_e32 v2, v2
	v_mul_lo_u32 v3, s2, v2
	v_mul_hi_u32 v3, v2, v3
	v_add_u32_e32 v2, v2, v3
	v_mul_hi_u32 v2, v4, v2
	v_mul_lo_u32 v2, v2, s38
	v_sub_u32_e32 v2, v4, v2
	v_subrev_u32_e32 v3, s38, v2
	v_cmp_le_u32_e32 vcc, s38, v2
	v_cndmask_b32_e32 v2, v2, v3, vcc
	v_subrev_u32_e32 v3, s38, v2
	v_cmp_le_u32_e32 vcc, s38, v2
	v_cndmask_b32_e32 v2, v2, v3, vcc
	v_mov_b32_e32 v3, 0
.LBB1_15:
	s_or_b64 exec, exec, s[0:1]
	s_mul_i32 s0, s38, s7
	s_mul_hi_u32 s1, s38, s6
	s_add_i32 s0, s1, s0
	s_mul_i32 s1, s39, s6
	s_add_i32 s1, s0, s1
	s_mov_b32 s0, 0
	s_cmp_lg_u64 s[0:1], 0
	s_mul_i32 s33, s38, s6
	s_cbranch_scc0 .LBB1_47
; %bb.16:
	s_ashr_i32 s2, s1, 31
	s_add_u32 s0, s33, s2
	s_mov_b32 s3, s2
	s_addc_u32 s1, s1, s2
	s_xor_b64 s[6:7], s[0:1], s[2:3]
	v_cvt_f32_u32_e32 v4, s6
	v_cvt_f32_u32_e32 v5, s7
	s_sub_u32 s3, 0, s6
	s_subb_u32 s34, 0, s7
	v_add_co_u32_e32 v11, vcc, 0, v6
	v_madmk_f32 v4, v5, 0x4f800000, v4
	v_rcp_f32_e32 v4, v4
	v_mul_f32_e32 v4, 0x5f7ffffc, v4
	v_mul_f32_e32 v5, 0x2f800000, v4
	v_trunc_f32_e32 v5, v5
	v_madmk_f32 v4, v5, 0xcf800000, v4
	v_cvt_u32_f32_e32 v5, v5
	v_cvt_u32_f32_e32 v4, v4
	v_readfirstlane_b32 s35, v5
	v_readfirstlane_b32 s0, v4
	s_mul_i32 s1, s3, s35
	s_mul_hi_u32 s41, s3, s0
	s_mul_i32 s40, s34, s0
	s_add_i32 s1, s41, s1
	s_add_i32 s1, s1, s40
	s_mul_i32 s42, s3, s0
	s_mul_i32 s41, s0, s1
	s_mul_hi_u32 s43, s0, s42
	s_mul_hi_u32 s40, s0, s1
	s_add_u32 s41, s43, s41
	s_addc_u32 s40, 0, s40
	s_mul_hi_u32 s44, s35, s42
	s_mul_i32 s42, s35, s42
	s_add_u32 s41, s41, s42
	s_mul_hi_u32 s43, s35, s1
	s_addc_u32 s40, s40, s44
	s_addc_u32 s41, s43, 0
	s_mul_i32 s1, s35, s1
	s_add_u32 s1, s40, s1
	s_addc_u32 s40, 0, s41
	s_add_u32 s41, s0, s1
	s_cselect_b64 s[0:1], -1, 0
	s_cmp_lg_u64 s[0:1], 0
	s_addc_u32 s35, s35, s40
	s_mul_i32 s0, s3, s35
	s_mul_hi_u32 s1, s3, s41
	s_add_i32 s0, s1, s0
	s_mul_i32 s34, s34, s41
	s_add_i32 s0, s0, s34
	s_mul_i32 s3, s3, s41
	s_mul_hi_u32 s34, s35, s3
	s_mul_i32 s40, s35, s3
	s_mul_i32 s43, s41, s0
	s_mul_hi_u32 s3, s41, s3
	s_mul_hi_u32 s42, s41, s0
	s_add_u32 s3, s3, s43
	s_addc_u32 s42, 0, s42
	s_add_u32 s3, s3, s40
	s_mul_hi_u32 s1, s35, s0
	s_addc_u32 s3, s42, s34
	s_addc_u32 s1, s1, 0
	s_mul_i32 s0, s35, s0
	s_add_u32 s0, s3, s0
	s_addc_u32 s3, 0, s1
	s_add_u32 s34, s41, s0
	s_cselect_b64 s[0:1], -1, 0
	s_cmp_lg_u64 s[0:1], 0
	s_addc_u32 s3, s35, s3
	v_mad_u64_u32 v[4:5], s[0:1], v11, s3, 0
	v_mul_hi_u32 v9, v11, s34
	v_addc_co_u32_e64 v12, s[0:1], 0, 0, vcc
	v_add_co_u32_e32 v13, vcc, v9, v4
	v_addc_co_u32_e32 v14, vcc, 0, v5, vcc
	v_mad_u64_u32 v[4:5], s[0:1], v12, s34, 0
	v_mad_u64_u32 v[9:10], s[0:1], v12, s3, 0
	v_add_co_u32_e32 v4, vcc, v13, v4
	v_addc_co_u32_e32 v4, vcc, v14, v5, vcc
	v_addc_co_u32_e32 v5, vcc, 0, v10, vcc
	v_add_co_u32_e32 v9, vcc, v4, v9
	v_addc_co_u32_e32 v10, vcc, 0, v5, vcc
	v_mul_lo_u32 v13, s7, v9
	v_mul_lo_u32 v14, s6, v10
	v_mad_u64_u32 v[4:5], s[0:1], s6, v9, 0
	v_add3_u32 v5, v5, v14, v13
	v_sub_u32_e32 v13, v12, v5
	v_mov_b32_e32 v14, s7
	v_sub_co_u32_e32 v4, vcc, v11, v4
	v_subb_co_u32_e64 v11, s[0:1], v13, v14, vcc
	v_subrev_co_u32_e64 v13, s[0:1], s6, v4
	v_subbrev_co_u32_e64 v11, s[0:1], 0, v11, s[0:1]
	v_cmp_le_u32_e64 s[0:1], s7, v11
	v_cndmask_b32_e64 v14, 0, -1, s[0:1]
	v_cmp_le_u32_e64 s[0:1], s6, v13
	v_cndmask_b32_e64 v13, 0, -1, s[0:1]
	v_cmp_eq_u32_e64 s[0:1], s7, v11
	v_cndmask_b32_e64 v11, v14, v13, s[0:1]
	v_add_co_u32_e64 v13, s[0:1], 2, v9
	v_subb_co_u32_e32 v5, vcc, v12, v5, vcc
	v_addc_co_u32_e64 v14, s[0:1], 0, v10, s[0:1]
	v_cmp_le_u32_e32 vcc, s7, v5
	v_add_co_u32_e64 v15, s[0:1], 1, v9
	v_cndmask_b32_e64 v12, 0, -1, vcc
	v_cmp_le_u32_e32 vcc, s6, v4
	v_addc_co_u32_e64 v16, s[0:1], 0, v10, s[0:1]
	v_cndmask_b32_e64 v4, 0, -1, vcc
	v_cmp_eq_u32_e32 vcc, s7, v5
	v_cmp_ne_u32_e64 s[0:1], 0, v11
	v_cndmask_b32_e32 v4, v12, v4, vcc
	v_cndmask_b32_e64 v11, v16, v14, s[0:1]
	v_cmp_ne_u32_e32 vcc, 0, v4
	v_cndmask_b32_e64 v5, v15, v13, s[0:1]
	v_cndmask_b32_e32 v4, v10, v11, vcc
	v_cndmask_b32_e32 v5, v9, v5, vcc
	v_xor_b32_e32 v9, s2, v4
	v_xor_b32_e32 v4, s2, v5
	v_mov_b32_e32 v5, s2
	v_subrev_co_u32_e32 v4, vcc, s2, v4
	v_subb_co_u32_e32 v5, vcc, v9, v5, vcc
	s_cbranch_execnz .LBB1_18
.LBB1_17:
	v_cvt_f32_u32_e32 v4, s33
	s_sub_i32 s0, 0, s33
	v_rcp_iflag_f32_e32 v4, v4
	v_mul_f32_e32 v4, 0x4f7ffffe, v4
	v_cvt_u32_f32_e32 v4, v4
	v_mul_lo_u32 v5, s0, v4
	v_mul_hi_u32 v5, v4, v5
	v_add_u32_e32 v4, v4, v5
	v_mul_hi_u32 v4, v6, v4
	v_mul_lo_u32 v5, v4, s33
	v_add_u32_e32 v9, 1, v4
	v_sub_u32_e32 v5, v6, v5
	v_subrev_u32_e32 v10, s33, v5
	v_cmp_le_u32_e32 vcc, s33, v5
	v_cndmask_b32_e32 v5, v5, v10, vcc
	v_cndmask_b32_e32 v4, v4, v9, vcc
	v_add_u32_e32 v9, 1, v4
	v_cmp_le_u32_e32 vcc, s33, v5
	v_cndmask_b32_e32 v4, v4, v9, vcc
	v_mov_b32_e32 v5, 0
.LBB1_18:
	v_mul_lo_u32 v9, v8, s12
	v_mul_lo_u32 v10, v7, s13
	v_mad_u64_u32 v[7:8], s[0:1], v7, s12, 0
	s_load_dwordx2 s[34:35], s[4:5], 0x10
	v_cmp_lt_i64_e64 s[0:1], s[36:37], 1
	v_add3_u32 v8, v8, v10, v9
	v_sub_co_u32_e32 v6, vcc, v6, v7
	v_subb_co_u32_e32 v7, vcc, 0, v8, vcc
	s_and_b64 vcc, exec, s[0:1]
	s_cbranch_vccnz .LBB1_48
; %bb.19:
	v_mul_lo_u32 v10, v1, s22
	v_mul_lo_u32 v11, v0, s23
	v_mad_u64_u32 v[8:9], s[0:1], v0, s22, 0
	s_add_u32 s0, s26, s30
	s_addc_u32 s1, s27, s31
	v_add3_u32 v9, v9, v11, v10
	v_not_b32_e32 v10, v8
	v_not_b32_e32 v9, v9
	v_mov_b32_e32 v12, s1
	v_add_co_u32_e32 v11, vcc, s0, v10
	v_addc_co_u32_e32 v12, vcc, v9, v12, vcc
	v_or_b32_e32 v10, s31, v12
	v_mov_b32_e32 v9, 0
	v_cmp_ne_u64_e32 vcc, 0, v[9:10]
                                        ; implicit-def: $vgpr9_vgpr10
	s_and_saveexec_b64 s[0:1], vcc
	s_xor_b64 s[2:3], exec, s[0:1]
	s_cbranch_execz .LBB1_21
; %bb.20:
	s_ashr_i32 s6, s31, 31
	s_add_u32 s0, s30, s6
	s_mov_b32 s7, s6
	s_addc_u32 s1, s31, s6
	s_xor_b64 s[22:23], s[0:1], s[6:7]
	v_cvt_f32_u32_e32 v9, s22
	v_cvt_f32_u32_e32 v10, s23
	s_sub_u32 s7, 0, s22
	s_subb_u32 s27, 0, s23
	v_ashrrev_i32_e32 v15, 31, v12
	v_madmk_f32 v9, v10, 0x4f800000, v9
	v_rcp_f32_e32 v9, v9
	v_mul_f32_e32 v9, 0x5f7ffffc, v9
	v_mul_f32_e32 v10, 0x2f800000, v9
	v_trunc_f32_e32 v10, v10
	v_madmk_f32 v9, v10, 0xcf800000, v9
	v_cvt_u32_f32_e32 v10, v10
	v_cvt_u32_f32_e32 v9, v9
	v_readfirstlane_b32 s33, v10
	v_readfirstlane_b32 s0, v9
	s_mul_i32 s1, s7, s33
	s_mul_hi_u32 s41, s7, s0
	s_mul_i32 s40, s27, s0
	s_add_i32 s1, s41, s1
	s_add_i32 s1, s1, s40
	s_mul_i32 s42, s7, s0
	s_mul_i32 s41, s0, s1
	s_mul_hi_u32 s43, s0, s42
	s_mul_hi_u32 s40, s0, s1
	s_add_u32 s41, s43, s41
	s_addc_u32 s40, 0, s40
	s_mul_hi_u32 s44, s33, s42
	s_mul_i32 s42, s33, s42
	s_add_u32 s41, s41, s42
	s_mul_hi_u32 s43, s33, s1
	s_addc_u32 s40, s40, s44
	s_addc_u32 s41, s43, 0
	s_mul_i32 s1, s33, s1
	s_add_u32 s1, s40, s1
	s_addc_u32 s40, 0, s41
	s_add_u32 s41, s0, s1
	s_cselect_b64 s[0:1], -1, 0
	s_cmp_lg_u64 s[0:1], 0
	s_addc_u32 s33, s33, s40
	s_mul_i32 s0, s7, s33
	s_mul_hi_u32 s1, s7, s41
	s_add_i32 s0, s1, s0
	s_mul_i32 s27, s27, s41
	s_add_i32 s0, s0, s27
	s_mul_i32 s7, s7, s41
	s_mul_hi_u32 s27, s33, s7
	s_mul_i32 s40, s33, s7
	s_mul_i32 s43, s41, s0
	s_mul_hi_u32 s7, s41, s7
	s_mul_hi_u32 s42, s41, s0
	s_add_u32 s7, s7, s43
	s_addc_u32 s42, 0, s42
	s_add_u32 s7, s7, s40
	s_mul_hi_u32 s1, s33, s0
	s_addc_u32 s7, s42, s27
	s_addc_u32 s1, s1, 0
	s_mul_i32 s0, s33, s0
	s_add_u32 s0, s7, s0
	s_addc_u32 s7, 0, s1
	s_add_u32 s27, s41, s0
	s_cselect_b64 s[0:1], -1, 0
	s_cmp_lg_u64 s[0:1], 0
	v_add_co_u32_e32 v9, vcc, v11, v15
	s_addc_u32 s7, s33, s7
	v_xor_b32_e32 v16, v9, v15
	v_mad_u64_u32 v[9:10], s[0:1], v16, s7, 0
	v_mul_hi_u32 v14, v16, s27
	v_addc_co_u32_e32 v13, vcc, v12, v15, vcc
	v_xor_b32_e32 v17, v13, v15
	v_add_co_u32_e32 v18, vcc, v14, v9
	v_addc_co_u32_e32 v19, vcc, 0, v10, vcc
	v_mad_u64_u32 v[9:10], s[0:1], v17, s27, 0
	v_mad_u64_u32 v[13:14], s[0:1], v17, s7, 0
	v_add_co_u32_e32 v9, vcc, v18, v9
	v_addc_co_u32_e32 v9, vcc, v19, v10, vcc
	v_addc_co_u32_e32 v10, vcc, 0, v14, vcc
	v_add_co_u32_e32 v13, vcc, v9, v13
	v_addc_co_u32_e32 v14, vcc, 0, v10, vcc
	v_mul_lo_u32 v18, s23, v13
	v_mul_lo_u32 v19, s22, v14
	v_mad_u64_u32 v[9:10], s[0:1], s22, v13, 0
	v_add3_u32 v10, v10, v19, v18
	v_sub_u32_e32 v18, v17, v10
	v_mov_b32_e32 v19, s23
	v_sub_co_u32_e32 v9, vcc, v16, v9
	v_subb_co_u32_e64 v16, s[0:1], v18, v19, vcc
	v_subrev_co_u32_e64 v18, s[0:1], s22, v9
	v_subbrev_co_u32_e64 v16, s[0:1], 0, v16, s[0:1]
	v_cmp_le_u32_e64 s[0:1], s23, v16
	v_cndmask_b32_e64 v19, 0, -1, s[0:1]
	v_cmp_le_u32_e64 s[0:1], s22, v18
	v_cndmask_b32_e64 v18, 0, -1, s[0:1]
	v_cmp_eq_u32_e64 s[0:1], s23, v16
	v_cndmask_b32_e64 v16, v19, v18, s[0:1]
	v_add_co_u32_e64 v18, s[0:1], 2, v13
	v_subb_co_u32_e32 v10, vcc, v17, v10, vcc
	v_addc_co_u32_e64 v19, s[0:1], 0, v14, s[0:1]
	v_cmp_le_u32_e32 vcc, s23, v10
	v_add_co_u32_e64 v20, s[0:1], 1, v13
	v_cndmask_b32_e64 v17, 0, -1, vcc
	v_cmp_le_u32_e32 vcc, s22, v9
	v_addc_co_u32_e64 v21, s[0:1], 0, v14, s[0:1]
	v_cndmask_b32_e64 v9, 0, -1, vcc
	v_cmp_eq_u32_e32 vcc, s23, v10
	v_cmp_ne_u32_e64 s[0:1], 0, v16
	v_cndmask_b32_e32 v9, v17, v9, vcc
	v_cndmask_b32_e64 v16, v21, v19, s[0:1]
	v_cmp_ne_u32_e32 vcc, 0, v9
	v_cndmask_b32_e64 v10, v20, v18, s[0:1]
	v_cndmask_b32_e32 v9, v14, v16, vcc
	v_cndmask_b32_e32 v10, v13, v10, vcc
	v_xor_b32_e32 v13, s6, v15
	v_xor_b32_e32 v14, v9, v13
	;; [unrolled: 1-line block ×3, first 2 shown]
	v_sub_co_u32_e32 v9, vcc, v9, v13
	v_subb_co_u32_e32 v10, vcc, v14, v13, vcc
.LBB1_21:
	s_or_saveexec_b64 s[0:1], s[2:3]
	v_cvt_f32_u32_e32 v15, s30
	s_xor_b64 exec, exec, s[0:1]
	s_cbranch_execz .LBB1_23
; %bb.22:
	v_rcp_iflag_f32_e32 v9, v15
	s_sub_i32 s2, 0, s30
	v_mul_f32_e32 v9, 0x4f7ffffe, v9
	v_cvt_u32_f32_e32 v9, v9
	v_mul_lo_u32 v10, s2, v9
	v_mul_hi_u32 v10, v9, v10
	v_add_u32_e32 v9, v9, v10
	v_mul_hi_u32 v9, v11, v9
	v_mul_lo_u32 v10, v9, s30
	v_add_u32_e32 v13, 1, v9
	v_sub_u32_e32 v10, v11, v10
	v_subrev_u32_e32 v14, s30, v10
	v_cmp_le_u32_e32 vcc, s30, v10
	v_cndmask_b32_e32 v10, v10, v14, vcc
	v_cndmask_b32_e32 v9, v9, v13, vcc
	v_add_u32_e32 v13, 1, v9
	v_cmp_le_u32_e32 vcc, s30, v10
	v_cndmask_b32_e32 v9, v9, v13, vcc
	v_mov_b32_e32 v10, 0
.LBB1_23:
	s_or_b64 exec, exec, s[0:1]
	v_mov_b32_e32 v13, s11
	v_add_co_u32_e32 v11, vcc, s10, v11
	v_addc_co_u32_e32 v12, vcc, v12, v13, vcc
	v_or_b32_e32 v14, s31, v12
	v_mov_b32_e32 v13, 0
	v_cmp_ne_u64_e32 vcc, 0, v[13:14]
                                        ; implicit-def: $vgpr13_vgpr14
	s_and_saveexec_b64 s[0:1], vcc
	s_xor_b64 s[2:3], exec, s[0:1]
	s_cbranch_execz .LBB1_25
; %bb.24:
	s_ashr_i32 s6, s31, 31
	s_add_u32 s0, s30, s6
	s_mov_b32 s7, s6
	s_addc_u32 s1, s31, s6
	s_xor_b64 s[22:23], s[0:1], s[6:7]
	v_cvt_f32_u32_e32 v13, s22
	v_cvt_f32_u32_e32 v14, s23
	s_sub_u32 s7, 0, s22
	s_subb_u32 s27, 0, s23
	v_ashrrev_i32_e32 v15, 31, v12
	v_madmk_f32 v13, v14, 0x4f800000, v13
	v_rcp_f32_e32 v13, v13
	v_add_co_u32_e32 v11, vcc, v11, v15
	v_xor_b32_e32 v16, v11, v15
	v_mul_f32_e32 v13, 0x5f7ffffc, v13
	v_mul_f32_e32 v14, 0x2f800000, v13
	v_trunc_f32_e32 v14, v14
	v_madmk_f32 v13, v14, 0xcf800000, v13
	v_cvt_u32_f32_e32 v14, v14
	v_cvt_u32_f32_e32 v13, v13
	v_readfirstlane_b32 s31, v14
	v_readfirstlane_b32 s0, v13
	s_mul_i32 s1, s7, s31
	s_mul_hi_u32 s40, s7, s0
	s_mul_i32 s33, s27, s0
	s_add_i32 s1, s40, s1
	s_add_i32 s1, s1, s33
	s_mul_i32 s41, s7, s0
	s_mul_i32 s40, s0, s1
	s_mul_hi_u32 s42, s0, s41
	s_mul_hi_u32 s33, s0, s1
	s_add_u32 s40, s42, s40
	s_addc_u32 s33, 0, s33
	s_mul_hi_u32 s43, s31, s41
	s_mul_i32 s41, s31, s41
	s_add_u32 s40, s40, s41
	s_mul_hi_u32 s42, s31, s1
	s_addc_u32 s33, s33, s43
	s_addc_u32 s40, s42, 0
	s_mul_i32 s1, s31, s1
	s_add_u32 s1, s33, s1
	s_addc_u32 s33, 0, s40
	s_add_u32 s40, s0, s1
	s_cselect_b64 s[0:1], -1, 0
	s_cmp_lg_u64 s[0:1], 0
	s_addc_u32 s31, s31, s33
	s_mul_i32 s0, s7, s31
	s_mul_hi_u32 s1, s7, s40
	s_add_i32 s0, s1, s0
	s_mul_i32 s27, s27, s40
	s_add_i32 s0, s0, s27
	s_mul_i32 s7, s7, s40
	s_mul_hi_u32 s27, s31, s7
	s_mul_i32 s33, s31, s7
	s_mul_i32 s42, s40, s0
	s_mul_hi_u32 s7, s40, s7
	s_mul_hi_u32 s41, s40, s0
	s_add_u32 s7, s7, s42
	s_addc_u32 s41, 0, s41
	s_add_u32 s7, s7, s33
	s_mul_hi_u32 s1, s31, s0
	s_addc_u32 s7, s41, s27
	s_addc_u32 s1, s1, 0
	s_mul_i32 s0, s31, s0
	s_add_u32 s0, s7, s0
	s_addc_u32 s7, 0, s1
	s_add_u32 s27, s40, s0
	s_cselect_b64 s[0:1], -1, 0
	s_cmp_lg_u64 s[0:1], 0
	s_addc_u32 s7, s31, s7
	v_addc_co_u32_e32 v13, vcc, v12, v15, vcc
	v_mad_u64_u32 v[11:12], s[0:1], v16, s7, 0
	v_mul_hi_u32 v14, v16, s27
	v_xor_b32_e32 v17, v13, v15
	v_add_co_u32_e32 v18, vcc, v14, v11
	v_addc_co_u32_e32 v19, vcc, 0, v12, vcc
	v_mad_u64_u32 v[11:12], s[0:1], v17, s27, 0
	v_mad_u64_u32 v[13:14], s[0:1], v17, s7, 0
	v_add_co_u32_e32 v11, vcc, v18, v11
	v_addc_co_u32_e32 v11, vcc, v19, v12, vcc
	v_addc_co_u32_e32 v12, vcc, 0, v14, vcc
	v_add_co_u32_e32 v13, vcc, v11, v13
	v_addc_co_u32_e32 v14, vcc, 0, v12, vcc
	v_mul_lo_u32 v18, s23, v13
	v_mul_lo_u32 v19, s22, v14
	v_mad_u64_u32 v[11:12], s[0:1], s22, v13, 0
	v_add3_u32 v12, v12, v19, v18
	v_sub_u32_e32 v18, v17, v12
	v_mov_b32_e32 v19, s23
	v_sub_co_u32_e32 v11, vcc, v16, v11
	v_subb_co_u32_e64 v16, s[0:1], v18, v19, vcc
	v_subrev_co_u32_e64 v18, s[0:1], s22, v11
	v_subbrev_co_u32_e64 v16, s[0:1], 0, v16, s[0:1]
	v_cmp_le_u32_e64 s[0:1], s23, v16
	v_cndmask_b32_e64 v19, 0, -1, s[0:1]
	v_cmp_le_u32_e64 s[0:1], s22, v18
	v_cndmask_b32_e64 v18, 0, -1, s[0:1]
	v_cmp_eq_u32_e64 s[0:1], s23, v16
	v_cndmask_b32_e64 v16, v19, v18, s[0:1]
	v_add_co_u32_e64 v18, s[0:1], 2, v13
	v_subb_co_u32_e32 v12, vcc, v17, v12, vcc
	v_addc_co_u32_e64 v19, s[0:1], 0, v14, s[0:1]
	v_cmp_le_u32_e32 vcc, s23, v12
	v_add_co_u32_e64 v20, s[0:1], 1, v13
	v_cndmask_b32_e64 v17, 0, -1, vcc
	v_cmp_le_u32_e32 vcc, s22, v11
	v_addc_co_u32_e64 v21, s[0:1], 0, v14, s[0:1]
	v_cndmask_b32_e64 v11, 0, -1, vcc
	v_cmp_eq_u32_e32 vcc, s23, v12
	v_cmp_ne_u32_e64 s[0:1], 0, v16
	v_cndmask_b32_e32 v11, v17, v11, vcc
	v_cndmask_b32_e64 v16, v21, v19, s[0:1]
	v_cmp_ne_u32_e32 vcc, 0, v11
	v_cndmask_b32_e64 v12, v20, v18, s[0:1]
	v_cndmask_b32_e32 v11, v14, v16, vcc
	v_cndmask_b32_e32 v12, v13, v12, vcc
	v_xor_b32_e32 v14, s6, v15
	v_xor_b32_e32 v12, v12, v14
	;; [unrolled: 1-line block ×3, first 2 shown]
	v_sub_co_u32_e32 v13, vcc, v12, v14
	v_subb_co_u32_e32 v14, vcc, v11, v14, vcc
                                        ; implicit-def: $vgpr15
                                        ; implicit-def: $vgpr11
.LBB1_25:
	s_andn2_saveexec_b64 s[0:1], s[2:3]
	s_cbranch_execz .LBB1_27
; %bb.26:
	v_rcp_iflag_f32_e32 v12, v15
	s_sub_i32 s2, 0, s30
	v_mul_f32_e32 v12, 0x4f7ffffe, v12
	v_cvt_u32_f32_e32 v12, v12
	v_mul_lo_u32 v13, s2, v12
	v_mul_hi_u32 v13, v12, v13
	v_add_u32_e32 v12, v12, v13
	v_mul_hi_u32 v12, v11, v12
	v_mul_lo_u32 v13, v12, s30
	v_add_u32_e32 v14, 1, v12
	v_sub_u32_e32 v11, v11, v13
	v_subrev_u32_e32 v13, s30, v11
	v_cmp_le_u32_e32 vcc, s30, v11
	v_cndmask_b32_e32 v11, v11, v13, vcc
	v_cndmask_b32_e32 v12, v12, v14, vcc
	v_add_u32_e32 v13, 1, v12
	v_cmp_le_u32_e32 vcc, s30, v11
	v_cndmask_b32_e32 v13, v12, v13, vcc
	v_mov_b32_e32 v14, 0
.LBB1_27:
	s_or_b64 exec, exec, s[0:1]
	v_mul_lo_u32 v15, v7, s20
	v_mul_lo_u32 v16, v6, s21
	v_mad_u64_u32 v[11:12], s[0:1], v6, s20, 0
	s_add_u32 s0, s24, s28
	s_addc_u32 s1, s25, s29
	v_add3_u32 v12, v12, v16, v15
	v_not_b32_e32 v15, v12
	v_not_b32_e32 v12, v11
	v_mov_b32_e32 v16, s1
	v_add_co_u32_e32 v12, vcc, s0, v12
	v_addc_co_u32_e32 v17, vcc, v15, v16, vcc
	v_or_b32_e32 v16, s29, v17
	v_mov_b32_e32 v15, 0
	v_cmp_ne_u64_e32 vcc, 0, v[15:16]
                                        ; implicit-def: $vgpr15_vgpr16
	s_and_saveexec_b64 s[0:1], vcc
	s_xor_b64 s[2:3], exec, s[0:1]
	s_cbranch_execz .LBB1_29
; %bb.28:
	s_ashr_i32 s6, s29, 31
	s_add_u32 s0, s28, s6
	s_mov_b32 s7, s6
	s_addc_u32 s1, s29, s6
	s_xor_b64 s[20:21], s[0:1], s[6:7]
	v_cvt_f32_u32_e32 v15, s20
	v_cvt_f32_u32_e32 v16, s21
	s_sub_u32 s7, 0, s20
	s_subb_u32 s22, 0, s21
	v_ashrrev_i32_e32 v20, 31, v17
	v_madmk_f32 v15, v16, 0x4f800000, v15
	v_rcp_f32_e32 v15, v15
	v_mul_f32_e32 v15, 0x5f7ffffc, v15
	v_mul_f32_e32 v16, 0x2f800000, v15
	v_trunc_f32_e32 v16, v16
	v_madmk_f32 v15, v16, 0xcf800000, v15
	v_cvt_u32_f32_e32 v16, v16
	v_cvt_u32_f32_e32 v15, v15
	v_readfirstlane_b32 s23, v16
	v_readfirstlane_b32 s0, v15
	s_mul_i32 s1, s7, s23
	s_mul_hi_u32 s27, s7, s0
	s_mul_i32 s25, s22, s0
	s_add_i32 s1, s27, s1
	s_add_i32 s1, s1, s25
	s_mul_i32 s31, s7, s0
	s_mul_i32 s27, s0, s1
	s_mul_hi_u32 s33, s0, s31
	s_mul_hi_u32 s25, s0, s1
	s_add_u32 s27, s33, s27
	s_addc_u32 s25, 0, s25
	s_mul_hi_u32 s40, s23, s31
	s_mul_i32 s31, s23, s31
	s_add_u32 s27, s27, s31
	s_mul_hi_u32 s33, s23, s1
	s_addc_u32 s25, s25, s40
	s_addc_u32 s27, s33, 0
	s_mul_i32 s1, s23, s1
	s_add_u32 s1, s25, s1
	s_addc_u32 s25, 0, s27
	s_add_u32 s27, s0, s1
	s_cselect_b64 s[0:1], -1, 0
	s_cmp_lg_u64 s[0:1], 0
	s_addc_u32 s23, s23, s25
	s_mul_i32 s0, s7, s23
	s_mul_hi_u32 s1, s7, s27
	s_add_i32 s0, s1, s0
	s_mul_i32 s22, s22, s27
	s_add_i32 s0, s0, s22
	s_mul_i32 s7, s7, s27
	s_mul_hi_u32 s22, s23, s7
	s_mul_i32 s25, s23, s7
	s_mul_i32 s33, s27, s0
	s_mul_hi_u32 s7, s27, s7
	s_mul_hi_u32 s31, s27, s0
	s_add_u32 s7, s7, s33
	s_addc_u32 s31, 0, s31
	s_add_u32 s7, s7, s25
	s_mul_hi_u32 s1, s23, s0
	s_addc_u32 s7, s31, s22
	s_addc_u32 s1, s1, 0
	s_mul_i32 s0, s23, s0
	s_add_u32 s0, s7, s0
	s_addc_u32 s7, 0, s1
	s_add_u32 s22, s27, s0
	s_cselect_b64 s[0:1], -1, 0
	s_cmp_lg_u64 s[0:1], 0
	v_add_co_u32_e32 v15, vcc, v12, v20
	s_addc_u32 s7, s23, s7
	v_xor_b32_e32 v21, v15, v20
	v_mad_u64_u32 v[15:16], s[0:1], v21, s7, 0
	v_mul_hi_u32 v19, v21, s22
	v_addc_co_u32_e32 v18, vcc, v17, v20, vcc
	v_xor_b32_e32 v22, v18, v20
	v_add_co_u32_e32 v23, vcc, v19, v15
	v_addc_co_u32_e32 v24, vcc, 0, v16, vcc
	v_mad_u64_u32 v[15:16], s[0:1], v22, s22, 0
	v_mad_u64_u32 v[18:19], s[0:1], v22, s7, 0
	v_add_co_u32_e32 v15, vcc, v23, v15
	v_addc_co_u32_e32 v15, vcc, v24, v16, vcc
	v_addc_co_u32_e32 v16, vcc, 0, v19, vcc
	v_add_co_u32_e32 v18, vcc, v15, v18
	v_addc_co_u32_e32 v19, vcc, 0, v16, vcc
	v_mul_lo_u32 v23, s21, v18
	v_mul_lo_u32 v24, s20, v19
	v_mad_u64_u32 v[15:16], s[0:1], s20, v18, 0
	v_add3_u32 v16, v16, v24, v23
	v_sub_u32_e32 v23, v22, v16
	v_mov_b32_e32 v24, s21
	v_sub_co_u32_e32 v15, vcc, v21, v15
	v_subb_co_u32_e64 v21, s[0:1], v23, v24, vcc
	v_subrev_co_u32_e64 v23, s[0:1], s20, v15
	v_subbrev_co_u32_e64 v21, s[0:1], 0, v21, s[0:1]
	v_cmp_le_u32_e64 s[0:1], s21, v21
	v_cndmask_b32_e64 v24, 0, -1, s[0:1]
	v_cmp_le_u32_e64 s[0:1], s20, v23
	v_cndmask_b32_e64 v23, 0, -1, s[0:1]
	v_cmp_eq_u32_e64 s[0:1], s21, v21
	v_cndmask_b32_e64 v21, v24, v23, s[0:1]
	v_add_co_u32_e64 v23, s[0:1], 2, v18
	v_subb_co_u32_e32 v16, vcc, v22, v16, vcc
	v_addc_co_u32_e64 v24, s[0:1], 0, v19, s[0:1]
	v_cmp_le_u32_e32 vcc, s21, v16
	v_add_co_u32_e64 v25, s[0:1], 1, v18
	v_cndmask_b32_e64 v22, 0, -1, vcc
	v_cmp_le_u32_e32 vcc, s20, v15
	v_addc_co_u32_e64 v26, s[0:1], 0, v19, s[0:1]
	v_cndmask_b32_e64 v15, 0, -1, vcc
	v_cmp_eq_u32_e32 vcc, s21, v16
	v_cmp_ne_u32_e64 s[0:1], 0, v21
	v_cndmask_b32_e32 v15, v22, v15, vcc
	v_cndmask_b32_e64 v21, v26, v24, s[0:1]
	v_cmp_ne_u32_e32 vcc, 0, v15
	v_cndmask_b32_e64 v16, v25, v23, s[0:1]
	v_cndmask_b32_e32 v15, v19, v21, vcc
	v_cndmask_b32_e32 v16, v18, v16, vcc
	v_xor_b32_e32 v18, s6, v20
	v_xor_b32_e32 v19, v15, v18
	v_xor_b32_e32 v15, v16, v18
	v_sub_co_u32_e32 v15, vcc, v15, v18
	v_subb_co_u32_e32 v16, vcc, v19, v18, vcc
.LBB1_29:
	s_or_saveexec_b64 s[0:1], s[2:3]
	v_cvt_f32_u32_e32 v20, s28
	s_xor_b64 exec, exec, s[0:1]
	s_cbranch_execz .LBB1_31
; %bb.30:
	v_rcp_iflag_f32_e32 v15, v20
	s_sub_i32 s2, 0, s28
	v_mul_f32_e32 v15, 0x4f7ffffe, v15
	v_cvt_u32_f32_e32 v15, v15
	v_mul_lo_u32 v16, s2, v15
	v_mul_hi_u32 v16, v15, v16
	v_add_u32_e32 v15, v15, v16
	v_mul_hi_u32 v15, v12, v15
	v_mul_lo_u32 v16, v15, s28
	v_add_u32_e32 v18, 1, v15
	v_sub_u32_e32 v16, v12, v16
	v_subrev_u32_e32 v19, s28, v16
	v_cmp_le_u32_e32 vcc, s28, v16
	v_cndmask_b32_e32 v16, v16, v19, vcc
	v_cndmask_b32_e32 v15, v15, v18, vcc
	v_add_u32_e32 v18, 1, v15
	v_cmp_le_u32_e32 vcc, s28, v16
	v_cndmask_b32_e32 v15, v15, v18, vcc
	v_mov_b32_e32 v16, 0
.LBB1_31:
	s_or_b64 exec, exec, s[0:1]
	s_load_dwordx2 s[6:7], s[4:5], 0x8
	v_mov_b32_e32 v18, s9
	v_add_co_u32_e32 v12, vcc, s8, v12
	v_addc_co_u32_e32 v19, vcc, v17, v18, vcc
	v_or_b32_e32 v18, s29, v19
	v_mov_b32_e32 v17, 0
	v_cmp_ne_u64_e32 vcc, 0, v[17:18]
                                        ; implicit-def: $vgpr17_vgpr18
	s_and_saveexec_b64 s[0:1], vcc
	s_xor_b64 s[2:3], exec, s[0:1]
	s_cbranch_execz .LBB1_33
; %bb.32:
	s_ashr_i32 s20, s29, 31
	s_add_u32 s0, s28, s20
	s_mov_b32 s21, s20
	s_addc_u32 s1, s29, s20
	s_xor_b64 s[22:23], s[0:1], s[20:21]
	v_cvt_f32_u32_e32 v17, s22
	v_cvt_f32_u32_e32 v18, s23
	s_sub_u32 s21, 0, s22
	s_subb_u32 s25, 0, s23
	v_ashrrev_i32_e32 v21, 31, v19
	v_madmk_f32 v17, v18, 0x4f800000, v17
	v_rcp_f32_e32 v17, v17
	v_add_co_u32_e32 v12, vcc, v12, v21
	v_xor_b32_e32 v12, v12, v21
	v_mul_f32_e32 v17, 0x5f7ffffc, v17
	v_mul_f32_e32 v18, 0x2f800000, v17
	v_trunc_f32_e32 v18, v18
	v_madmk_f32 v17, v18, 0xcf800000, v17
	v_cvt_u32_f32_e32 v18, v18
	v_cvt_u32_f32_e32 v17, v17
	v_addc_co_u32_e32 v19, vcc, v19, v21, vcc
	v_readfirstlane_b32 s27, v18
	v_readfirstlane_b32 s0, v17
	s_mul_i32 s1, s21, s27
	s_mul_hi_u32 s31, s21, s0
	s_mul_i32 s29, s25, s0
	s_add_i32 s1, s31, s1
	s_add_i32 s1, s1, s29
	s_mul_i32 s33, s21, s0
	s_mul_i32 s31, s0, s1
	s_mul_hi_u32 s40, s0, s33
	s_mul_hi_u32 s29, s0, s1
	s_add_u32 s31, s40, s31
	s_addc_u32 s29, 0, s29
	s_mul_hi_u32 s41, s27, s33
	s_mul_i32 s33, s27, s33
	s_add_u32 s31, s31, s33
	s_mul_hi_u32 s40, s27, s1
	s_addc_u32 s29, s29, s41
	s_addc_u32 s31, s40, 0
	s_mul_i32 s1, s27, s1
	s_add_u32 s1, s29, s1
	s_addc_u32 s29, 0, s31
	s_add_u32 s31, s0, s1
	s_cselect_b64 s[0:1], -1, 0
	s_cmp_lg_u64 s[0:1], 0
	s_addc_u32 s27, s27, s29
	s_mul_i32 s0, s21, s27
	s_mul_hi_u32 s1, s21, s31
	s_add_i32 s0, s1, s0
	s_mul_i32 s25, s25, s31
	s_add_i32 s0, s0, s25
	s_mul_i32 s21, s21, s31
	s_mul_hi_u32 s25, s27, s21
	s_mul_i32 s29, s27, s21
	s_mul_i32 s40, s31, s0
	s_mul_hi_u32 s21, s31, s21
	s_mul_hi_u32 s33, s31, s0
	s_add_u32 s21, s21, s40
	s_addc_u32 s33, 0, s33
	s_add_u32 s21, s21, s29
	s_mul_hi_u32 s1, s27, s0
	s_addc_u32 s21, s33, s25
	s_addc_u32 s1, s1, 0
	s_mul_i32 s0, s27, s0
	s_add_u32 s0, s21, s0
	s_addc_u32 s21, 0, s1
	s_add_u32 s25, s31, s0
	s_cselect_b64 s[0:1], -1, 0
	s_cmp_lg_u64 s[0:1], 0
	s_addc_u32 s21, s27, s21
	v_mad_u64_u32 v[17:18], s[0:1], v12, s21, 0
	v_mul_hi_u32 v20, v12, s25
	v_xor_b32_e32 v22, v19, v21
	v_add_co_u32_e32 v23, vcc, v20, v17
	v_addc_co_u32_e32 v24, vcc, 0, v18, vcc
	v_mad_u64_u32 v[17:18], s[0:1], v22, s25, 0
	v_mad_u64_u32 v[19:20], s[0:1], v22, s21, 0
	v_add_co_u32_e32 v17, vcc, v23, v17
	v_addc_co_u32_e32 v17, vcc, v24, v18, vcc
	v_addc_co_u32_e32 v18, vcc, 0, v20, vcc
	v_add_co_u32_e32 v19, vcc, v17, v19
	v_addc_co_u32_e32 v20, vcc, 0, v18, vcc
	v_mul_lo_u32 v23, s23, v19
	v_mul_lo_u32 v24, s22, v20
	v_mad_u64_u32 v[17:18], s[0:1], s22, v19, 0
	v_add3_u32 v18, v18, v24, v23
	v_sub_u32_e32 v23, v22, v18
	v_mov_b32_e32 v24, s23
	v_sub_co_u32_e32 v12, vcc, v12, v17
	v_subb_co_u32_e64 v17, s[0:1], v23, v24, vcc
	v_subrev_co_u32_e64 v23, s[0:1], s22, v12
	v_subbrev_co_u32_e64 v17, s[0:1], 0, v17, s[0:1]
	v_cmp_le_u32_e64 s[0:1], s23, v17
	v_cndmask_b32_e64 v24, 0, -1, s[0:1]
	v_cmp_le_u32_e64 s[0:1], s22, v23
	v_cndmask_b32_e64 v23, 0, -1, s[0:1]
	v_cmp_eq_u32_e64 s[0:1], s23, v17
	v_cndmask_b32_e64 v17, v24, v23, s[0:1]
	v_add_co_u32_e64 v23, s[0:1], 2, v19
	v_subb_co_u32_e32 v18, vcc, v22, v18, vcc
	v_addc_co_u32_e64 v24, s[0:1], 0, v20, s[0:1]
	v_cmp_le_u32_e32 vcc, s23, v18
	v_add_co_u32_e64 v25, s[0:1], 1, v19
	v_cndmask_b32_e64 v22, 0, -1, vcc
	v_cmp_le_u32_e32 vcc, s22, v12
	v_addc_co_u32_e64 v26, s[0:1], 0, v20, s[0:1]
	v_cndmask_b32_e64 v12, 0, -1, vcc
	v_cmp_eq_u32_e32 vcc, s23, v18
	v_cmp_ne_u32_e64 s[0:1], 0, v17
	v_cndmask_b32_e32 v12, v22, v12, vcc
	v_cndmask_b32_e64 v17, v26, v24, s[0:1]
	v_cmp_ne_u32_e32 vcc, 0, v12
	v_cndmask_b32_e32 v12, v20, v17, vcc
	v_cndmask_b32_e64 v17, v25, v23, s[0:1]
	v_cndmask_b32_e32 v17, v19, v17, vcc
	v_xor_b32_e32 v18, s20, v21
	v_xor_b32_e32 v17, v17, v18
	;; [unrolled: 1-line block ×3, first 2 shown]
	v_sub_co_u32_e32 v17, vcc, v17, v18
	v_subb_co_u32_e32 v18, vcc, v12, v18, vcc
                                        ; implicit-def: $vgpr20
                                        ; implicit-def: $vgpr12
.LBB1_33:
	s_or_saveexec_b64 s[0:1], s[2:3]
	s_load_dwordx2 s[20:21], s[4:5], 0x0
	s_xor_b64 exec, exec, s[0:1]
	s_cbranch_execz .LBB1_35
; %bb.34:
	v_rcp_iflag_f32_e32 v17, v20
	s_sub_i32 s2, 0, s28
	v_mul_f32_e32 v17, 0x4f7ffffe, v17
	v_cvt_u32_f32_e32 v17, v17
	v_mul_lo_u32 v18, s2, v17
	v_mul_hi_u32 v18, v17, v18
	v_add_u32_e32 v17, v17, v18
	v_mul_hi_u32 v17, v12, v17
	v_mul_lo_u32 v18, v17, s28
	v_add_u32_e32 v19, 1, v17
	v_sub_u32_e32 v12, v12, v18
	v_subrev_u32_e32 v18, s28, v12
	v_cmp_le_u32_e32 vcc, s28, v12
	v_cndmask_b32_e32 v12, v12, v18, vcc
	v_cndmask_b32_e32 v17, v17, v19, vcc
	v_add_u32_e32 v18, 1, v17
	v_cmp_le_u32_e32 vcc, s28, v12
	v_cndmask_b32_e32 v17, v17, v18, vcc
	v_mov_b32_e32 v18, 0
.LBB1_35:
	s_or_b64 exec, exec, s[0:1]
	v_cmp_lt_i64_e32 vcc, 0, v[15:16]
	v_mov_b32_e32 v12, s19
	v_cndmask_b32_e32 v16, 0, v16, vcc
	v_cndmask_b32_e32 v15, 0, v15, vcc
	v_cmp_lt_i64_e32 vcc, s[18:19], v[13:14]
	v_mad_u64_u32 v[19:20], s[2:3], v4, s36, 0
	v_cndmask_b32_e32 v14, v14, v12, vcc
	v_mov_b32_e32 v12, s18
	v_cndmask_b32_e32 v13, v13, v12, vcc
	v_cmp_lt_i64_e32 vcc, 0, v[9:10]
	v_mov_b32_e32 v12, s17
	v_cndmask_b32_e32 v10, 0, v10, vcc
	v_cndmask_b32_e32 v9, 0, v9, vcc
	v_cmp_lt_i64_e32 vcc, s[16:17], v[17:18]
	s_mul_i32 s2, s36, s19
	s_mul_hi_u32 s3, s36, s18
	v_cndmask_b32_e32 v18, v18, v12, vcc
	v_mov_b32_e32 v12, s16
	s_add_i32 s2, s3, s2
	s_mul_i32 s3, s37, s18
	v_cndmask_b32_e32 v17, v17, v12, vcc
	v_mul_lo_u32 v12, v5, s36
	v_mul_lo_u32 v23, v4, s37
	s_add_i32 s2, s2, s3
	s_mul_i32 s4, s36, s18
	v_mul_lo_u32 v24, s2, v2
	v_mad_u64_u32 v[21:22], s[2:3], s4, v2, v[9:10]
	v_mul_lo_u32 v25, s4, v3
	v_add3_u32 v20, v20, v23, v12
	v_mad_u64_u32 v[11:12], s[2:3], s28, v15, v[11:12]
	v_add3_u32 v12, v24, v22, v25
	v_mul_lo_u32 v23, s16, v12
	v_mul_lo_u32 v24, s17, v21
	v_mad_u64_u32 v[21:22], s[2:3], s16, v21, 0
	v_subrev_co_u32_e64 v8, s[0:1], s26, v8
	v_add3_u32 v22, v22, v23, v24
	v_lshlrev_b64 v[21:22], 2, v[21:22]
	v_lshlrev_b64 v[23:24], 2, v[15:16]
	v_cmp_lt_i64_e32 vcc, v[9:10], v[13:14]
	v_add_co_u32_e64 v21, s[2:3], v21, v23
	v_addc_co_u32_e64 v22, s[2:3], v22, v24, s[2:3]
	s_waitcnt lgkmcnt(0)
	v_mov_b32_e32 v23, s7
	v_add_co_u32_e64 v21, s[2:3], s6, v21
	v_addc_co_u32_e64 v22, s[2:3], v23, v22, s[2:3]
	s_mul_i32 s2, s18, s17
	s_mul_hi_u32 s3, s18, s16
	s_add_i32 s2, s3, s2
	s_mul_i32 s3, s19, s16
	v_cmp_lt_i64_e64 s[0:1], v[15:16], v[17:18]
	v_subrev_u32_e32 v12, s24, v11
	v_mov_b32_e32 v11, 0
	s_add_i32 s3, s2, s3
	s_mul_i32 s2, s18, s16
	s_mov_b64 s[22:23], 0
	s_mov_b32 s31, s28
	s_lshl_b64 s[18:19], s[2:3], 2
	s_lshl_b64 s[16:17], s[16:17], 2
	v_mov_b32_e32 v35, v11
	s_branch .LBB1_38
.LBB1_36:                               ;   in Loop: Header=BB1_38 Depth=1
	s_or_b64 exec, exec, s[26:27]
.LBB1_37:                               ;   in Loop: Header=BB1_38 Depth=1
	s_or_b64 exec, exec, s[24:25]
	s_add_u32 s22, s22, 1
	s_addc_u32 s23, s23, 0
	v_mov_b32_e32 v23, s19
	v_add_co_u32_e64 v21, s[2:3], s18, v21
	s_cmp_eq_u64 s[22:23], s[36:37]
	v_addc_co_u32_e64 v22, s[2:3], v22, v23, s[2:3]
	s_cbranch_scc1 .LBB1_49
.LBB1_38:                               ; =>This Loop Header: Depth=1
                                        ;     Child Loop BB1_41 Depth 2
                                        ;       Child Loop BB1_43 Depth 3
	s_and_saveexec_b64 s[24:25], vcc
	s_cbranch_execz .LBB1_37
; %bb.39:                               ;   in Loop: Header=BB1_38 Depth=1
	v_mov_b32_e32 v23, s23
	v_add_co_u32_e64 v24, s[2:3], s22, v19
	v_addc_co_u32_e64 v23, s[2:3], v23, v20, s[2:3]
	v_mul_lo_u32 v25, v23, s10
	v_mul_lo_u32 v26, v24, s11
	v_mad_u64_u32 v[23:24], s[2:3], v24, s10, 0
	v_mov_b32_e32 v28, v10
	s_mov_b64 s[26:27], 0
	v_add3_u32 v24, v24, v26, v25
	v_mov_b32_e32 v26, v22
	v_mov_b32_e32 v25, v21
	;; [unrolled: 1-line block ×3, first 2 shown]
	s_branch .LBB1_41
.LBB1_40:                               ;   in Loop: Header=BB1_41 Depth=2
	s_or_b64 exec, exec, s[28:29]
	v_add_co_u32_e64 v27, s[2:3], 1, v27
	v_addc_co_u32_e64 v28, s[2:3], 0, v28, s[2:3]
	v_cmp_ge_i64_e64 s[2:3], v[27:28], v[13:14]
	v_mov_b32_e32 v29, s17
	s_or_b64 s[26:27], s[2:3], s[26:27]
	v_add_co_u32_e64 v25, s[2:3], s16, v25
	v_addc_co_u32_e64 v26, s[2:3], v26, v29, s[2:3]
	s_andn2_b64 exec, exec, s[26:27]
	s_cbranch_execz .LBB1_36
.LBB1_41:                               ;   Parent Loop BB1_38 Depth=1
                                        ; =>  This Loop Header: Depth=2
                                        ;       Child Loop BB1_43 Depth 3
	s_and_saveexec_b64 s[28:29], s[0:1]
	s_cbranch_execz .LBB1_40
; %bb.42:                               ;   in Loop: Header=BB1_41 Depth=2
	v_mad_u64_u32 v[29:30], s[2:3], v27, s30, v[8:9]
	v_mov_b32_e32 v34, v16
	s_mov_b64 s[40:41], 0
	v_ashrrev_i32_e32 v30, 31, v29
	v_add_co_u32_e64 v29, s[2:3], v29, v23
	v_addc_co_u32_e64 v30, s[2:3], v30, v24, s[2:3]
	v_mul_lo_u32 v31, v30, s8
	v_mul_lo_u32 v32, v29, s9
	v_mad_u64_u32 v[29:30], s[2:3], v29, s8, 0
	v_mov_b32_e32 v33, v15
	v_add3_u32 v30, v30, v32, v31
	v_lshlrev_b64 v[29:30], 2, v[29:30]
	v_mov_b32_e32 v31, s21
	v_add_co_u32_e64 v36, s[2:3], s20, v29
	v_addc_co_u32_e64 v37, s[2:3], v31, v30, s[2:3]
	v_mov_b32_e32 v30, v26
	v_mov_b32_e32 v32, v12
	;; [unrolled: 1-line block ×4, first 2 shown]
.LBB1_43:                               ;   Parent Loop BB1_38 Depth=1
                                        ;     Parent Loop BB1_41 Depth=2
                                        ; =>    This Inner Loop Header: Depth=3
	v_ashrrev_i64 v[38:39], 30, v[31:32]
	global_load_dword v40, v[29:30], off
	v_add_co_u32_e64 v38, s[2:3], v36, v38
	v_addc_co_u32_e64 v39, s[2:3], v37, v39, s[2:3]
	global_load_dword v38, v[38:39], off
	v_add_co_u32_e64 v33, s[2:3], 1, v33
	v_add_co_u32_e64 v29, s[6:7], 4, v29
	v_addc_co_u32_e64 v34, s[2:3], 0, v34, s[2:3]
	v_addc_co_u32_e64 v30, s[2:3], 0, v30, s[6:7]
	v_cmp_ge_i64_e64 s[2:3], v[33:34], v[17:18]
	v_mov_b32_e32 v39, s31
	v_add_co_u32_e64 v31, s[4:5], 0, v31
	v_addc_co_u32_e64 v32, s[4:5], v32, v39, s[4:5]
	s_or_b64 s[40:41], s[2:3], s[40:41]
	s_waitcnt vmcnt(0)
	v_fmac_f32_e32 v35, v38, v40
	s_andn2_b64 exec, exec, s[40:41]
	s_cbranch_execnz .LBB1_43
; %bb.44:                               ;   in Loop: Header=BB1_41 Depth=2
	s_or_b64 exec, exec, s[40:41]
	s_branch .LBB1_40
.LBB1_45:
                                        ; implicit-def: $vgpr7_vgpr8
	s_branch .LBB1_3
.LBB1_46:
                                        ; implicit-def: $vgpr4_vgpr5
	s_branch .LBB1_10
.LBB1_47:
                                        ; implicit-def: $vgpr4_vgpr5
	s_branch .LBB1_17
.LBB1_48:
	v_mov_b32_e32 v35, 0
.LBB1_49:
	v_mad_u64_u32 v[2:3], s[0:1], v4, s38, v[2:3]
	v_mul_lo_u32 v4, v4, s39
	v_mul_lo_u32 v5, v5, s38
	v_mad_u64_u32 v[0:1], s[0:1], v2, s14, v[0:1]
	v_add3_u32 v3, v5, v3, v4
	v_mul_lo_u32 v4, v2, s15
	v_mul_lo_u32 v2, v3, s14
	;; [unrolled: 1-line block ×3, first 2 shown]
	v_add3_u32 v2, v2, v1, v4
	v_mad_u64_u32 v[0:1], s[0:1], v0, s12, 0
	v_mul_lo_u32 v2, v2, s12
	v_add3_u32 v1, v1, v3, v2
	v_lshlrev_b64 v[0:1], 2, v[0:1]
	s_waitcnt lgkmcnt(0)
	v_mov_b32_e32 v2, s35
	v_add_co_u32_e32 v3, vcc, s34, v0
	v_addc_co_u32_e32 v2, vcc, v2, v1, vcc
	v_lshlrev_b64 v[0:1], 2, v[6:7]
	v_add_co_u32_e32 v0, vcc, v3, v0
	v_addc_co_u32_e32 v1, vcc, v2, v1, vcc
	global_store_dword v[0:1], v35, off
.LBB1_50:
	s_endpgm
	.section	.rodata,"a",@progbits
	.p2align	6, 0x0
	.amdhsa_kernel _ZL13conv2d_kernelIf11whcn_layoutEvPKfPKT_Pf11conv_params
		.amdhsa_group_segment_fixed_size 0
		.amdhsa_private_segment_fixed_size 0
		.amdhsa_kernarg_size 408
		.amdhsa_user_sgpr_count 6
		.amdhsa_user_sgpr_private_segment_buffer 1
		.amdhsa_user_sgpr_dispatch_ptr 0
		.amdhsa_user_sgpr_queue_ptr 0
		.amdhsa_user_sgpr_kernarg_segment_ptr 1
		.amdhsa_user_sgpr_dispatch_id 0
		.amdhsa_user_sgpr_flat_scratch_init 0
		.amdhsa_user_sgpr_private_segment_size 0
		.amdhsa_uses_dynamic_stack 0
		.amdhsa_system_sgpr_private_segment_wavefront_offset 0
		.amdhsa_system_sgpr_workgroup_id_x 1
		.amdhsa_system_sgpr_workgroup_id_y 0
		.amdhsa_system_sgpr_workgroup_id_z 0
		.amdhsa_system_sgpr_workgroup_info 0
		.amdhsa_system_vgpr_workitem_id 0
		.amdhsa_next_free_vgpr 41
		.amdhsa_next_free_sgpr 47
		.amdhsa_reserve_vcc 1
		.amdhsa_reserve_flat_scratch 0
		.amdhsa_float_round_mode_32 0
		.amdhsa_float_round_mode_16_64 0
		.amdhsa_float_denorm_mode_32 3
		.amdhsa_float_denorm_mode_16_64 3
		.amdhsa_dx10_clamp 1
		.amdhsa_ieee_mode 1
		.amdhsa_fp16_overflow 0
		.amdhsa_exception_fp_ieee_invalid_op 0
		.amdhsa_exception_fp_denorm_src 0
		.amdhsa_exception_fp_ieee_div_zero 0
		.amdhsa_exception_fp_ieee_overflow 0
		.amdhsa_exception_fp_ieee_underflow 0
		.amdhsa_exception_fp_ieee_inexact 0
		.amdhsa_exception_int_div_zero 0
	.end_amdhsa_kernel
	.section	.text._ZL13conv2d_kernelIf11whcn_layoutEvPKfPKT_Pf11conv_params,"axG",@progbits,_ZL13conv2d_kernelIf11whcn_layoutEvPKfPKT_Pf11conv_params,comdat
.Lfunc_end1:
	.size	_ZL13conv2d_kernelIf11whcn_layoutEvPKfPKT_Pf11conv_params, .Lfunc_end1-_ZL13conv2d_kernelIf11whcn_layoutEvPKfPKT_Pf11conv_params
                                        ; -- End function
	.set _ZL13conv2d_kernelIf11whcn_layoutEvPKfPKT_Pf11conv_params.num_vgpr, 41
	.set _ZL13conv2d_kernelIf11whcn_layoutEvPKfPKT_Pf11conv_params.num_agpr, 0
	.set _ZL13conv2d_kernelIf11whcn_layoutEvPKfPKT_Pf11conv_params.numbered_sgpr, 47
	.set _ZL13conv2d_kernelIf11whcn_layoutEvPKfPKT_Pf11conv_params.num_named_barrier, 0
	.set _ZL13conv2d_kernelIf11whcn_layoutEvPKfPKT_Pf11conv_params.private_seg_size, 0
	.set _ZL13conv2d_kernelIf11whcn_layoutEvPKfPKT_Pf11conv_params.uses_vcc, 1
	.set _ZL13conv2d_kernelIf11whcn_layoutEvPKfPKT_Pf11conv_params.uses_flat_scratch, 0
	.set _ZL13conv2d_kernelIf11whcn_layoutEvPKfPKT_Pf11conv_params.has_dyn_sized_stack, 0
	.set _ZL13conv2d_kernelIf11whcn_layoutEvPKfPKT_Pf11conv_params.has_recursion, 0
	.set _ZL13conv2d_kernelIf11whcn_layoutEvPKfPKT_Pf11conv_params.has_indirect_call, 0
	.section	.AMDGPU.csdata,"",@progbits
; Kernel info:
; codeLenInByte = 7912
; TotalNumSgprs: 51
; NumVgprs: 41
; ScratchSize: 0
; MemoryBound: 0
; FloatMode: 240
; IeeeMode: 1
; LDSByteSize: 0 bytes/workgroup (compile time only)
; SGPRBlocks: 6
; VGPRBlocks: 10
; NumSGPRsForWavesPerEU: 51
; NumVGPRsForWavesPerEU: 41
; Occupancy: 5
; WaveLimiterHint : 0
; COMPUTE_PGM_RSRC2:SCRATCH_EN: 0
; COMPUTE_PGM_RSRC2:USER_SGPR: 6
; COMPUTE_PGM_RSRC2:TRAP_HANDLER: 0
; COMPUTE_PGM_RSRC2:TGID_X_EN: 1
; COMPUTE_PGM_RSRC2:TGID_Y_EN: 0
; COMPUTE_PGM_RSRC2:TGID_Z_EN: 0
; COMPUTE_PGM_RSRC2:TIDIG_COMP_CNT: 0
	.section	.AMDGPU.gpr_maximums,"",@progbits
	.set amdgpu.max_num_vgpr, 0
	.set amdgpu.max_num_agpr, 0
	.set amdgpu.max_num_sgpr, 0
	.section	.AMDGPU.csdata,"",@progbits
	.type	__hip_cuid_e600adc3be150997,@object ; @__hip_cuid_e600adc3be150997
	.section	.bss,"aw",@nobits
	.globl	__hip_cuid_e600adc3be150997
__hip_cuid_e600adc3be150997:
	.byte	0                               ; 0x0
	.size	__hip_cuid_e600adc3be150997, 1

	.ident	"AMD clang version 22.0.0git (https://github.com/RadeonOpenCompute/llvm-project roc-7.2.4 26084 f58b06dce1f9c15707c5f808fd002e18c2accf7e)"
	.section	".note.GNU-stack","",@progbits
	.addrsig
	.addrsig_sym __hip_cuid_e600adc3be150997
	.amdgpu_metadata
---
amdhsa.kernels:
  - .args:
      - .actual_access:  read_only
        .address_space:  global
        .offset:         0
        .size:           8
        .value_kind:     global_buffer
      - .actual_access:  read_only
        .address_space:  global
        .offset:         8
        .size:           8
        .value_kind:     global_buffer
      - .actual_access:  write_only
        .address_space:  global
        .offset:         16
        .size:           8
        .value_kind:     global_buffer
      - .offset:         24
        .size:           128
        .value_kind:     by_value
      - .offset:         152
        .size:           4
        .value_kind:     hidden_block_count_x
      - .offset:         156
        .size:           4
        .value_kind:     hidden_block_count_y
      - .offset:         160
        .size:           4
        .value_kind:     hidden_block_count_z
      - .offset:         164
        .size:           2
        .value_kind:     hidden_group_size_x
      - .offset:         166
        .size:           2
        .value_kind:     hidden_group_size_y
      - .offset:         168
        .size:           2
        .value_kind:     hidden_group_size_z
      - .offset:         170
        .size:           2
        .value_kind:     hidden_remainder_x
      - .offset:         172
        .size:           2
        .value_kind:     hidden_remainder_y
      - .offset:         174
        .size:           2
        .value_kind:     hidden_remainder_z
      - .offset:         192
        .size:           8
        .value_kind:     hidden_global_offset_x
      - .offset:         200
        .size:           8
        .value_kind:     hidden_global_offset_y
      - .offset:         208
        .size:           8
        .value_kind:     hidden_global_offset_z
      - .offset:         216
        .size:           2
        .value_kind:     hidden_grid_dims
    .group_segment_fixed_size: 0
    .kernarg_segment_align: 8
    .kernarg_segment_size: 408
    .language:       OpenCL C
    .language_version:
      - 2
      - 0
    .max_flat_workgroup_size: 1024
    .name:           _ZL13conv2d_kernelI6__half11whcn_layoutEvPKfPKT_Pf11conv_params
    .private_segment_fixed_size: 0
    .sgpr_count:     51
    .sgpr_spill_count: 0
    .symbol:         _ZL13conv2d_kernelI6__half11whcn_layoutEvPKfPKT_Pf11conv_params.kd
    .uniform_work_group_size: 1
    .uses_dynamic_stack: false
    .vgpr_count:     41
    .vgpr_spill_count: 0
    .wavefront_size: 64
  - .args:
      - .actual_access:  read_only
        .address_space:  global
        .offset:         0
        .size:           8
        .value_kind:     global_buffer
      - .actual_access:  read_only
        .address_space:  global
        .offset:         8
        .size:           8
        .value_kind:     global_buffer
      - .actual_access:  write_only
        .address_space:  global
        .offset:         16
        .size:           8
        .value_kind:     global_buffer
      - .offset:         24
        .size:           128
        .value_kind:     by_value
      - .offset:         152
        .size:           4
        .value_kind:     hidden_block_count_x
      - .offset:         156
        .size:           4
        .value_kind:     hidden_block_count_y
      - .offset:         160
        .size:           4
        .value_kind:     hidden_block_count_z
      - .offset:         164
        .size:           2
        .value_kind:     hidden_group_size_x
      - .offset:         166
        .size:           2
        .value_kind:     hidden_group_size_y
      - .offset:         168
        .size:           2
        .value_kind:     hidden_group_size_z
      - .offset:         170
        .size:           2
        .value_kind:     hidden_remainder_x
      - .offset:         172
        .size:           2
        .value_kind:     hidden_remainder_y
      - .offset:         174
        .size:           2
        .value_kind:     hidden_remainder_z
      - .offset:         192
        .size:           8
        .value_kind:     hidden_global_offset_x
      - .offset:         200
        .size:           8
        .value_kind:     hidden_global_offset_y
      - .offset:         208
        .size:           8
        .value_kind:     hidden_global_offset_z
      - .offset:         216
        .size:           2
        .value_kind:     hidden_grid_dims
    .group_segment_fixed_size: 0
    .kernarg_segment_align: 8
    .kernarg_segment_size: 408
    .language:       OpenCL C
    .language_version:
      - 2
      - 0
    .max_flat_workgroup_size: 1024
    .name:           _ZL13conv2d_kernelIf11whcn_layoutEvPKfPKT_Pf11conv_params
    .private_segment_fixed_size: 0
    .sgpr_count:     51
    .sgpr_spill_count: 0
    .symbol:         _ZL13conv2d_kernelIf11whcn_layoutEvPKfPKT_Pf11conv_params.kd
    .uniform_work_group_size: 1
    .uses_dynamic_stack: false
    .vgpr_count:     41
    .vgpr_spill_count: 0
    .wavefront_size: 64
amdhsa.target:   amdgcn-amd-amdhsa--gfx906
amdhsa.version:
  - 1
  - 2
...

	.end_amdgpu_metadata
